;; amdgpu-corpus repo=ROCm/rocFFT kind=compiled arch=gfx950 opt=O3
	.text
	.amdgcn_target "amdgcn-amd-amdhsa--gfx950"
	.amdhsa_code_object_version 6
	.protected	bluestein_single_fwd_len150_dim1_dp_op_CI_CI ; -- Begin function bluestein_single_fwd_len150_dim1_dp_op_CI_CI
	.globl	bluestein_single_fwd_len150_dim1_dp_op_CI_CI
	.p2align	8
	.type	bluestein_single_fwd_len150_dim1_dp_op_CI_CI,@function
bluestein_single_fwd_len150_dim1_dp_op_CI_CI: ; @bluestein_single_fwd_len150_dim1_dp_op_CI_CI
; %bb.0:
	s_load_dwordx4 s[12:15], s[0:1], 0x28
	v_mul_u32_u24_e32 v1, 0x3334, v0
	v_lshrrev_b32_e32 v4, 16, v1
	v_mad_u64_u32 v[2:3], s[2:3], s2, 12, v[4:5]
	v_mov_b32_e32 v3, 0
	s_waitcnt lgkmcnt(0)
	v_cmp_gt_u64_e32 vcc, s[12:13], v[2:3]
	s_and_saveexec_b64 s[2:3], vcc
	s_cbranch_execz .LBB0_2
; %bb.1:
	s_load_dwordx4 s[4:7], s[0:1], 0x0
	s_load_dwordx4 s[8:11], s[0:1], 0x18
	s_load_dwordx2 s[2:3], s[0:1], 0x38
	v_mul_lo_u16_e32 v1, 5, v4
	s_mov_b32 s0, 0xaaaaaaab
	v_sub_u16_e32 v240, v0, v1
	v_mul_hi_u32 v0, v2, s0
	s_waitcnt lgkmcnt(0)
	v_mov_b32_e32 v8, s2
	v_mov_b32_e32 v9, s3
	s_load_dwordx4 s[0:3], s[10:11], 0x0
	v_lshrrev_b32_e32 v0, 3, v0
	v_mul_lo_u32 v0, v0, 12
	v_accvgpr_write_b32 a0, v8
	v_sub_u32_e32 v0, v2, v0
	s_waitcnt lgkmcnt(0)
	v_mad_u64_u32 v[4:5], s[10:11], s2, v2, 0
	s_load_dwordx4 s[8:11], s[8:9], 0x0
	v_accvgpr_write_b32 a1, v9
	v_mul_u32_u24_e32 v8, 0x96, v0
	v_mov_b32_e32 v0, v5
	v_mad_u64_u32 v[0:1], s[2:3], s3, v2, v[0:1]
	v_mov_b32_e32 v5, v0
	v_accvgpr_write_b32 a2, v4
	s_waitcnt lgkmcnt(0)
	v_mad_u64_u32 v[0:1], s[2:3], s10, v2, 0
	v_accvgpr_write_b32 a3, v5
	v_mov_b32_e32 v4, v1
	v_mov_b32_e32 v241, v3
	v_mad_u64_u32 v[2:3], s[2:3], s11, v2, v[4:5]
	v_mov_b32_e32 v1, v2
	v_mad_u64_u32 v[2:3], s[2:3], s8, v240, 0
	v_mov_b32_e32 v4, v3
	v_mov_b32_e32 v6, s14
	;; [unrolled: 1-line block ×3, first 2 shown]
	v_mad_u64_u32 v[4:5], s[2:3], s9, v240, v[4:5]
	v_mov_b32_e32 v3, v4
	v_lshl_add_u64 v[4:5], v[0:1], 4, v[6:7]
	v_lshl_add_u64 v[10:11], v[2:3], 4, v[4:5]
	v_lshlrev_b32_e32 v138, 4, v240
	global_load_dwordx4 v[0:3], v[10:11], off
	global_load_dwordx4 v[12:15], v138, s[4:5]
	v_mov_b32_e32 v184, 0xf0
	v_lshlrev_b32_e32 v246, 4, v8
	v_mad_u64_u32 v[10:11], s[2:3], s8, v184, v[10:11]
	v_add_u32_e32 v185, v138, v246
	s_mul_i32 s2, s9, 0xf0
	v_add_u32_e32 v11, s2, v11
	s_mul_i32 s3, s9, 0x1e0
	s_add_u32 s16, s4, 0x960
	s_addc_u32 s17, s5, 0
	v_lshl_add_u64 v[186:187], v[240:241], 0, 25
	s_mov_b32 s15, 0xbfe2cf23
	s_mov_b32 s22, 0x9b97f4a8
	s_mov_b32 s23, 0x3fe9e377
	s_mov_b32 s21, 0xbfd3c6ef
	s_mov_b32 s19, 0xbfe9e377
	s_mov_b32 s18, s22
	v_add_u32_e32 v247, 5, v240
	v_lshl_add_u64 v[244:245], v[240:241], 0, 20
	v_add_u32_e32 v245, 10, v240
	s_movk_i32 s24, 0xcd
	v_lshlrev_b32_e32 v243, 5, v240
	s_mov_b32 s25, 0xbfebb67a
	s_waitcnt vmcnt(0)
	v_accvgpr_write_b32 a4, v12
	v_mul_f64 v[6:7], v[2:3], v[14:15]
	v_fmac_f64_e32 v[6:7], v[0:1], v[12:13]
	v_mul_f64 v[0:1], v[0:1], v[14:15]
	v_fma_f64 v[8:9], v[2:3], v[12:13], -v[0:1]
	ds_write_b128 v185, v[6:9]
	v_accvgpr_write_b32 a5, v13
	v_accvgpr_write_b32 a6, v14
	v_accvgpr_write_b32 a7, v15
	global_load_dwordx4 v[0:3], v[10:11], off
	global_load_dwordx4 v[12:15], v138, s[4:5] offset:240
	v_mad_u64_u32 v[10:11], s[10:11], s8, v184, v[10:11]
	v_add_u32_e32 v11, s2, v11
	s_waitcnt vmcnt(0)
	v_mul_f64 v[6:7], v[2:3], v[14:15]
	v_fmac_f64_e32 v[6:7], v[0:1], v[12:13]
	v_mul_f64 v[0:1], v[0:1], v[14:15]
	v_fma_f64 v[8:9], v[2:3], v[12:13], -v[0:1]
	v_accvgpr_write_b32 a41, v15
	ds_write_b128 v185, v[6:9] offset:240
	v_accvgpr_write_b32 a40, v14
	v_accvgpr_write_b32 a39, v13
	v_accvgpr_write_b32 a38, v12
	global_load_dwordx4 v[0:3], v[10:11], off
	global_load_dwordx4 v[12:15], v138, s[4:5] offset:480
	v_mad_u64_u32 v[10:11], s[10:11], s8, v184, v[10:11]
	v_add_u32_e32 v11, s2, v11
	s_waitcnt vmcnt(0)
	v_mul_f64 v[6:7], v[2:3], v[14:15]
	v_fmac_f64_e32 v[6:7], v[0:1], v[12:13]
	v_mul_f64 v[0:1], v[0:1], v[14:15]
	v_fma_f64 v[8:9], v[2:3], v[12:13], -v[0:1]
	v_accvgpr_write_b32 a33, v15
	ds_write_b128 v185, v[6:9] offset:480
	;; [unrolled: 14-line block ×5, first 2 shown]
	v_accvgpr_write_b32 a20, v14
	v_accvgpr_write_b32 a19, v13
	;; [unrolled: 1-line block ×3, first 2 shown]
	global_load_dwordx4 v[0:3], v[10:11], off
	global_load_dwordx4 v[12:15], v138, s[4:5] offset:1440
	s_waitcnt vmcnt(0)
	v_mul_f64 v[6:7], v[2:3], v[14:15]
	v_fmac_f64_e32 v[6:7], v[0:1], v[12:13]
	v_mul_f64 v[0:1], v[0:1], v[14:15]
	v_fma_f64 v[8:9], v[2:3], v[12:13], -v[0:1]
	v_mad_u64_u32 v[0:1], s[10:11], s8, v184, v[10:11]
	v_accvgpr_write_b32 a17, v15
	ds_write_b128 v185, v[6:9] offset:1440
	v_add_u32_e32 v1, s2, v1
	v_accvgpr_write_b32 a16, v14
	v_accvgpr_write_b32 a15, v13
	;; [unrolled: 1-line block ×3, first 2 shown]
	global_load_dwordx4 v[6:9], v[0:1], off
	global_load_dwordx4 v[14:17], v138, s[4:5] offset:1680
	s_waitcnt vmcnt(0)
	v_mul_f64 v[2:3], v[6:7], v[16:17]
	v_mul_f64 v[10:11], v[8:9], v[16:17]
	v_fma_f64 v[12:13], v[8:9], v[14:15], -v[2:3]
	v_or_b32_e32 v8, 0x78, v240
	v_mad_u64_u32 v[2:3], s[10:11], s8, v8, 0
	v_fmac_f64_e32 v[10:11], v[6:7], v[14:15]
	v_mov_b32_e32 v6, v3
	v_mad_u64_u32 v[6:7], s[10:11], s9, v8, v[6:7]
	v_mov_b32_e32 v3, v6
	v_accvgpr_write_b32 a10, v14
	ds_write_b128 v185, v[10:13] offset:1680
	v_lshl_add_u64 v[2:3], v[2:3], 4, v[4:5]
	v_accvgpr_write_b32 a11, v15
	v_accvgpr_write_b32 a12, v16
	;; [unrolled: 1-line block ×4, first 2 shown]
	global_load_dwordx4 v[6:9], v[2:3], off
	global_load_dwordx4 v[14:17], v138, s[4:5] offset:1920
	s_waitcnt vmcnt(0)
	v_mul_f64 v[10:11], v[8:9], v[16:17]
	v_mul_f64 v[2:3], v[6:7], v[16:17]
	v_fmac_f64_e32 v[10:11], v[6:7], v[14:15]
	v_fma_f64 v[12:13], v[8:9], v[14:15], -v[2:3]
	v_mov_b32_e32 v2, 0x1e0
	ds_write_b128 v185, v[10:13] offset:1920
	v_mad_u64_u32 v[10:11], s[10:11], s8, v2, v[0:1]
	v_accvgpr_write_b32 a29, v17
	v_add_u32_e32 v11, s3, v11
	v_accvgpr_write_b32 a28, v16
	v_accvgpr_write_b32 a27, v15
	;; [unrolled: 1-line block ×3, first 2 shown]
	global_load_dwordx4 v[0:3], v[10:11], off
	global_load_dwordx4 v[14:17], v138, s[4:5] offset:2160
	v_mov_b32_e32 v12, 0x1e0
	v_mov_b32_e32 v13, 0xfffff7e0
	s_waitcnt vmcnt(0)
	v_mul_f64 v[6:7], v[2:3], v[16:17]
	v_fmac_f64_e32 v[6:7], v[0:1], v[14:15]
	v_mul_f64 v[0:1], v[0:1], v[16:17]
	v_fma_f64 v[8:9], v[2:3], v[14:15], -v[0:1]
	v_mov_b32_e32 v0, 0xfffff7e0
	v_mad_u64_u32 v[10:11], s[10:11], s8, v0, v[10:11]
	s_mul_i32 s10, s9, 0xfffff7e0
	s_sub_i32 s10, s10, s8
	v_accvgpr_write_b32 a127, v17
	ds_write_b128 v185, v[6:9] offset:2160
	v_add_u32_e32 v11, s10, v11
	v_accvgpr_write_b32 a126, v16
	v_accvgpr_write_b32 a125, v15
	v_accvgpr_write_b32 a124, v14
	global_load_dwordx4 v[0:3], v[10:11], off
	global_load_dwordx4 v[14:17], v138, s[4:5] offset:80
	v_mad_u64_u32 v[10:11], s[12:13], s8, v184, v[10:11]
	v_add_u32_e32 v11, s2, v11
	s_waitcnt vmcnt(0)
	v_mul_f64 v[6:7], v[2:3], v[16:17]
	v_fmac_f64_e32 v[6:7], v[0:1], v[14:15]
	v_mul_f64 v[0:1], v[0:1], v[16:17]
	v_fma_f64 v[8:9], v[2:3], v[14:15], -v[0:1]
	v_accvgpr_write_b32 a45, v17
	ds_write_b128 v185, v[6:9] offset:80
	v_accvgpr_write_b32 a44, v16
	v_accvgpr_write_b32 a43, v15
	v_accvgpr_write_b32 a42, v14
	global_load_dwordx4 v[0:3], v[10:11], off
	global_load_dwordx4 v[14:17], v138, s[4:5] offset:320
	v_mad_u64_u32 v[10:11], s[12:13], s8, v184, v[10:11]
	v_add_u32_e32 v11, s2, v11
	s_waitcnt vmcnt(0)
	v_mul_f64 v[6:7], v[2:3], v[16:17]
	v_fmac_f64_e32 v[6:7], v[0:1], v[14:15]
	v_mul_f64 v[0:1], v[0:1], v[16:17]
	v_fma_f64 v[8:9], v[2:3], v[14:15], -v[0:1]
	v_accvgpr_write_b32 a95, v17
	ds_write_b128 v185, v[6:9] offset:320
	;; [unrolled: 14-line block ×4, first 2 shown]
	v_accvgpr_write_b32 a86, v16
	v_accvgpr_write_b32 a85, v15
	;; [unrolled: 1-line block ×3, first 2 shown]
	global_load_dwordx4 v[0:3], v[10:11], off
	global_load_dwordx4 v[14:17], v138, s[4:5] offset:1040
	v_mad_u64_u32 v[10:11], s[12:13], s8, v12, v[10:11]
	v_add_u32_e32 v11, s3, v11
	v_mov_b32_e32 v12, 0x1e0
	s_waitcnt vmcnt(0)
	v_mul_f64 v[6:7], v[2:3], v[16:17]
	v_fmac_f64_e32 v[6:7], v[0:1], v[14:15]
	v_mul_f64 v[0:1], v[0:1], v[16:17]
	v_fma_f64 v[8:9], v[2:3], v[14:15], -v[0:1]
	ds_write_b128 v185, v[6:9] offset:1040
	v_or_b32_e32 v6, 0x50, v240
	v_mad_u64_u32 v[0:1], s[12:13], s8, v6, 0
	v_mov_b32_e32 v2, v1
	v_mad_u64_u32 v[2:3], s[12:13], s9, v6, v[2:3]
	v_mov_b32_e32 v1, v2
	v_accvgpr_write_b32 a79, v17
	v_accvgpr_write_b32 a58, v6
	v_lshl_add_u64 v[6:7], v[0:1], 4, v[4:5]
	v_accvgpr_write_b32 a78, v16
	v_accvgpr_write_b32 a77, v15
	;; [unrolled: 1-line block ×3, first 2 shown]
	global_load_dwordx4 v[0:3], v[6:7], off
	global_load_dwordx4 v[14:17], v138, s[4:5] offset:1280
	s_waitcnt vmcnt(0)
	v_mul_f64 v[6:7], v[2:3], v[16:17]
	v_fmac_f64_e32 v[6:7], v[0:1], v[14:15]
	v_mul_f64 v[0:1], v[0:1], v[16:17]
	v_fma_f64 v[8:9], v[2:3], v[14:15], -v[0:1]
	v_accvgpr_write_b32 a99, v17
	ds_write_b128 v185, v[6:9] offset:1280
	v_accvgpr_write_b32 a98, v16
	v_accvgpr_write_b32 a97, v15
	v_accvgpr_write_b32 a96, v14
	global_load_dwordx4 v[0:3], v[10:11], off
	global_load_dwordx4 v[14:17], v138, s[4:5] offset:1520
	v_mad_u64_u32 v[10:11], s[12:13], s8, v184, v[10:11]
	v_add_u32_e32 v11, s2, v11
	s_waitcnt vmcnt(0)
	v_mul_f64 v[6:7], v[2:3], v[16:17]
	v_fmac_f64_e32 v[6:7], v[0:1], v[14:15]
	v_mul_f64 v[0:1], v[0:1], v[16:17]
	v_fma_f64 v[8:9], v[2:3], v[14:15], -v[0:1]
	v_accvgpr_write_b32 a83, v17
	ds_write_b128 v185, v[6:9] offset:1520
	v_accvgpr_write_b32 a82, v16
	v_accvgpr_write_b32 a81, v15
	v_accvgpr_write_b32 a80, v14
	global_load_dwordx4 v[0:3], v[10:11], off
	global_load_dwordx4 v[14:17], v138, s[4:5] offset:1760
	v_mad_u64_u32 v[10:11], s[12:13], s8, v184, v[10:11]
	v_add_u32_e32 v11, s2, v11
	;; [unrolled: 14-line block ×3, first 2 shown]
	s_waitcnt vmcnt(0)
	v_mul_f64 v[6:7], v[2:3], v[16:17]
	v_fmac_f64_e32 v[6:7], v[0:1], v[14:15]
	v_mul_f64 v[0:1], v[0:1], v[16:17]
	v_fma_f64 v[8:9], v[2:3], v[14:15], -v[0:1]
	v_accvgpr_write_b32 a71, v17
	ds_write_b128 v185, v[6:9] offset:2000
	v_accvgpr_write_b32 a70, v16
	v_accvgpr_write_b32 a69, v15
	;; [unrolled: 1-line block ×3, first 2 shown]
	global_load_dwordx4 v[0:3], v[10:11], off
	global_load_dwordx4 v[14:17], v138, s[4:5] offset:2240
	s_waitcnt vmcnt(0)
	v_mul_f64 v[6:7], v[2:3], v[16:17]
	v_fmac_f64_e32 v[6:7], v[0:1], v[14:15]
	v_mul_f64 v[0:1], v[0:1], v[16:17]
	v_fma_f64 v[8:9], v[2:3], v[14:15], -v[0:1]
	ds_write_b128 v185, v[6:9] offset:2240
	v_mad_u64_u32 v[6:7], s[12:13], s8, v13, v[10:11]
	v_accvgpr_write_b32 a67, v17
	v_add_u32_e32 v7, s10, v7
	v_accvgpr_write_b32 a66, v16
	v_accvgpr_write_b32 a65, v15
	v_accvgpr_write_b32 a64, v14
	global_load_dwordx4 v[0:3], v[6:7], off
	global_load_dwordx4 v[14:17], v138, s[4:5] offset:160
	s_mov_b32 s13, 0xbfee6f0e
	s_waitcnt vmcnt(0)
	v_mul_f64 v[8:9], v[2:3], v[16:17]
	v_fmac_f64_e32 v[8:9], v[0:1], v[14:15]
	v_mul_f64 v[0:1], v[0:1], v[16:17]
	v_fma_f64 v[10:11], v[2:3], v[14:15], -v[0:1]
	ds_write_b128 v185, v[8:11] offset:160
	v_mad_u64_u32 v[10:11], s[10:11], s8, v184, v[6:7]
	v_accvgpr_write_b32 a111, v17
	v_add_u32_e32 v11, s2, v11
	v_accvgpr_write_b32 a110, v16
	v_accvgpr_write_b32 a109, v15
	v_accvgpr_write_b32 a108, v14
	global_load_dwordx4 v[0:3], v[10:11], off
	global_load_dwordx4 v[14:17], v138, s[4:5] offset:400
	s_waitcnt vmcnt(0)
	v_mul_f64 v[6:7], v[2:3], v[16:17]
	v_fmac_f64_e32 v[6:7], v[0:1], v[14:15]
	v_mul_f64 v[0:1], v[0:1], v[16:17]
	v_fma_f64 v[8:9], v[2:3], v[14:15], -v[0:1]
	ds_write_b128 v185, v[6:9] offset:400
	v_or_b32_e32 v6, 40, v240
	v_mad_u64_u32 v[0:1], s[10:11], s8, v6, 0
	v_mov_b32_e32 v2, v1
	v_mad_u64_u32 v[2:3], s[10:11], s9, v6, v[2:3]
	v_mov_b32_e32 v1, v2
	v_accvgpr_write_b32 a115, v17
	v_lshl_add_u64 v[4:5], v[0:1], 4, v[4:5]
	v_accvgpr_write_b32 a114, v16
	v_accvgpr_write_b32 a113, v15
	;; [unrolled: 1-line block ×3, first 2 shown]
	global_load_dwordx4 v[0:3], v[4:5], off
	global_load_dwordx4 v[14:17], v138, s[4:5] offset:640
	v_mov_b32_e32 v187, v6
	v_mad_u64_u32 v[8:9], s[10:11], s8, v12, v[10:11]
	v_add_u32_e32 v9, s3, v9
	v_accvgpr_write_b32 a9, v187
	s_waitcnt vmcnt(0)
	v_mul_f64 v[4:5], v[2:3], v[16:17]
	v_fmac_f64_e32 v[4:5], v[0:1], v[14:15]
	v_mul_f64 v[0:1], v[0:1], v[16:17]
	v_fma_f64 v[6:7], v[2:3], v[14:15], -v[0:1]
	ds_write_b128 v185, v[4:7] offset:640
	global_load_dwordx4 v[0:3], v[8:9], off
	global_load_dwordx4 v[10:13], v138, s[4:5] offset:880
	v_mad_u64_u32 v[8:9], s[10:11], s8, v184, v[8:9]
	v_add_u32_e32 v9, s2, v9
	v_accvgpr_write_b32 a123, v17
	v_accvgpr_write_b32 a122, v16
	;; [unrolled: 1-line block ×4, first 2 shown]
	s_waitcnt vmcnt(0)
	v_mul_f64 v[4:5], v[2:3], v[12:13]
	v_fmac_f64_e32 v[4:5], v[0:1], v[10:11]
	v_mul_f64 v[0:1], v[0:1], v[12:13]
	v_fma_f64 v[6:7], v[2:3], v[10:11], -v[0:1]
	v_accvgpr_write_b32 a119, v13
	ds_write_b128 v185, v[4:7] offset:880
	v_accvgpr_write_b32 a118, v12
	v_accvgpr_write_b32 a117, v11
	v_accvgpr_write_b32 a116, v10
	global_load_dwordx4 v[0:3], v[8:9], off
	global_load_dwordx4 v[10:13], v138, s[4:5] offset:1120
	v_mad_u64_u32 v[8:9], s[10:11], s8, v184, v[8:9]
	v_add_u32_e32 v9, s2, v9
	s_waitcnt vmcnt(0)
	v_mul_f64 v[4:5], v[2:3], v[12:13]
	v_fmac_f64_e32 v[4:5], v[0:1], v[10:11]
	v_mul_f64 v[0:1], v[0:1], v[12:13]
	v_fma_f64 v[6:7], v[2:3], v[10:11], -v[0:1]
	v_accvgpr_write_b32 a107, v13
	ds_write_b128 v185, v[4:7] offset:1120
	v_accvgpr_write_b32 a106, v12
	v_accvgpr_write_b32 a105, v11
	v_accvgpr_write_b32 a104, v10
	global_load_dwordx4 v[0:3], v[8:9], off
	global_load_dwordx4 v[10:13], v138, s[4:5] offset:1360
	v_mad_u64_u32 v[8:9], s[10:11], s8, v184, v[8:9]
	v_add_u32_e32 v9, s2, v9
	;; [unrolled: 14-line block ×3, first 2 shown]
	s_waitcnt vmcnt(0)
	v_mul_f64 v[4:5], v[2:3], v[12:13]
	v_fmac_f64_e32 v[4:5], v[0:1], v[10:11]
	v_mul_f64 v[0:1], v[0:1], v[12:13]
	v_fma_f64 v[6:7], v[2:3], v[10:11], -v[0:1]
	v_accvgpr_write_b32 a63, v13
	ds_write_b128 v185, v[4:7] offset:1600
	v_accvgpr_write_b32 a62, v12
	v_accvgpr_write_b32 a61, v11
	;; [unrolled: 1-line block ×3, first 2 shown]
	global_load_dwordx4 v[0:3], v[8:9], off
	global_load_dwordx4 v[10:13], v138, s[4:5] offset:1840
	s_waitcnt vmcnt(0)
	v_mul_f64 v[4:5], v[2:3], v[12:13]
	v_fmac_f64_e32 v[4:5], v[0:1], v[10:11]
	v_mul_f64 v[0:1], v[0:1], v[12:13]
	v_fma_f64 v[6:7], v[2:3], v[10:11], -v[0:1]
	v_mad_u64_u32 v[0:1], s[10:11], s8, v184, v[8:9]
	v_accvgpr_write_b32 a57, v13
	ds_write_b128 v185, v[4:7] offset:1840
	v_add_u32_e32 v1, s2, v1
	v_accvgpr_write_b32 a56, v12
	v_accvgpr_write_b32 a55, v11
	;; [unrolled: 1-line block ×3, first 2 shown]
	global_load_dwordx4 v[2:5], v[0:1], off
	global_load_dwordx4 v[10:13], v138, s[4:5] offset:2080
	v_mad_u64_u32 v[0:1], s[8:9], s8, v184, v[0:1]
	v_add_u32_e32 v1, s2, v1
	s_mov_b32 s2, 0x134454ff
	s_mov_b32 s3, 0x3fee6f0e
	;; [unrolled: 1-line block ×9, first 2 shown]
	s_waitcnt vmcnt(0)
	v_mul_f64 v[6:7], v[4:5], v[12:13]
	v_fmac_f64_e32 v[6:7], v[2:3], v[10:11]
	v_mul_f64 v[2:3], v[2:3], v[12:13]
	v_fma_f64 v[8:9], v[4:5], v[10:11], -v[2:3]
	ds_write_b128 v185, v[6:9] offset:2080
	global_load_dwordx4 v[0:3], v[0:1], off
	s_nop 0
	global_load_dwordx4 v[4:7], v138, s[4:5] offset:2320
	v_accvgpr_write_b32 a53, v13
	v_accvgpr_write_b32 a52, v12
	;; [unrolled: 1-line block ×4, first 2 shown]
	s_waitcnt vmcnt(0)
	v_mov_b64_e32 v[8:9], v[6:7]
	v_mov_b64_e32 v[6:7], v[4:5]
	v_mul_f64 v[4:5], v[2:3], v[8:9]
	v_fmac_f64_e32 v[4:5], v[0:1], v[6:7]
	v_mul_f64 v[0:1], v[0:1], v[8:9]
	v_mov_b64_e32 v[10:11], v[8:9]
	v_mov_b64_e32 v[8:9], v[6:7]
	v_fma_f64 v[6:7], v[2:3], v[8:9], -v[0:1]
	v_accvgpr_write_b32 a49, v11
	v_accvgpr_write_b32 a48, v10
	;; [unrolled: 1-line block ×4, first 2 shown]
	ds_write_b128 v185, v[4:7] offset:2320
	s_waitcnt lgkmcnt(0)
	; wave barrier
	s_waitcnt lgkmcnt(0)
	ds_read_b128 v[74:77], v185
	ds_read_b128 v[18:21], v185 offset:240
	ds_read_b128 v[22:25], v185 offset:480
	;; [unrolled: 1-line block ×29, first 2 shown]
	s_waitcnt lgkmcnt(14)
	v_add_f64 v[16:17], v[74:75], v[22:23]
	v_add_f64 v[16:17], v[16:17], v[26:27]
	;; [unrolled: 1-line block ×5, first 2 shown]
	v_fma_f64 v[30:31], -0.5, v[16:17], v[74:75]
	v_add_f64 v[16:17], v[24:25], -v[116:117]
	v_fma_f64 v[118:119], s[2:3], v[16:17], v[30:31]
	v_add_f64 v[122:123], v[28:29], -v[112:113]
	v_add_f64 v[120:121], v[22:23], -v[26:27]
	;; [unrolled: 1-line block ×3, first 2 shown]
	v_fmac_f64_e32 v[30:31], s[12:13], v[16:17]
	v_fmac_f64_e32 v[118:119], s[8:9], v[122:123]
	v_add_f64 v[120:121], v[120:121], v[124:125]
	v_fmac_f64_e32 v[30:31], s[14:15], v[122:123]
	v_fmac_f64_e32 v[118:119], s[10:11], v[120:121]
	;; [unrolled: 1-line block ×3, first 2 shown]
	v_add_f64 v[120:121], v[22:23], v[114:115]
	v_fmac_f64_e32 v[74:75], -0.5, v[120:121]
	v_fma_f64 v[120:121], s[12:13], v[122:123], v[74:75]
	v_fmac_f64_e32 v[74:75], s[2:3], v[122:123]
	v_fmac_f64_e32 v[120:121], s[8:9], v[16:17]
	;; [unrolled: 1-line block ×3, first 2 shown]
	v_add_f64 v[16:17], v[76:77], v[24:25]
	v_add_f64 v[16:17], v[16:17], v[28:29]
	v_add_f64 v[124:125], v[26:27], -v[22:23]
	v_add_f64 v[126:127], v[110:111], -v[114:115]
	v_add_f64 v[16:17], v[16:17], v[112:113]
	v_add_f64 v[124:125], v[124:125], v[126:127]
	;; [unrolled: 1-line block ×4, first 2 shown]
	v_fma_f64 v[122:123], -0.5, v[16:17], v[76:77]
	v_add_f64 v[16:17], v[22:23], -v[114:115]
	v_fma_f64 v[22:23], s[12:13], v[16:17], v[122:123]
	v_add_f64 v[26:27], v[26:27], -v[110:111]
	v_add_f64 v[110:111], v[24:25], -v[28:29]
	;; [unrolled: 1-line block ×3, first 2 shown]
	v_fmac_f64_e32 v[122:123], s[2:3], v[16:17]
	v_fmac_f64_e32 v[22:23], s[14:15], v[26:27]
	v_add_f64 v[110:111], v[110:111], v[114:115]
	v_fmac_f64_e32 v[122:123], s[8:9], v[26:27]
	v_fmac_f64_e32 v[22:23], s[10:11], v[110:111]
	;; [unrolled: 1-line block ×3, first 2 shown]
	v_add_f64 v[110:111], v[24:25], v[116:117]
	v_fmac_f64_e32 v[76:77], -0.5, v[110:111]
	v_fma_f64 v[110:111], s[2:3], v[26:27], v[76:77]
	v_fmac_f64_e32 v[76:77], s[12:13], v[26:27]
	v_fmac_f64_e32 v[110:111], s[14:15], v[16:17]
	;; [unrolled: 1-line block ×3, first 2 shown]
	v_add_f64 v[16:17], v[18:19], v[0:1]
	v_add_f64 v[24:25], v[28:29], -v[24:25]
	v_add_f64 v[28:29], v[112:113], -v[116:117]
	v_add_f64 v[16:17], v[16:17], v[4:5]
	v_add_f64 v[24:25], v[24:25], v[28:29]
	;; [unrolled: 1-line block ×3, first 2 shown]
	v_fmac_f64_e32 v[110:111], s[10:11], v[24:25]
	v_fmac_f64_e32 v[76:77], s[10:11], v[24:25]
	v_add_f64 v[24:25], v[16:17], v[12:13]
	v_add_f64 v[16:17], v[4:5], v[8:9]
	v_fma_f64 v[26:27], -0.5, v[16:17], v[18:19]
	v_add_f64 v[16:17], v[2:3], -v[14:15]
	v_fma_f64 v[28:29], s[2:3], v[16:17], v[26:27]
	v_add_f64 v[112:113], v[6:7], -v[10:11]
	v_add_f64 v[114:115], v[0:1], -v[4:5]
	;; [unrolled: 1-line block ×3, first 2 shown]
	v_fmac_f64_e32 v[26:27], s[12:13], v[16:17]
	v_fmac_f64_e32 v[28:29], s[8:9], v[112:113]
	v_add_f64 v[114:115], v[114:115], v[116:117]
	v_fmac_f64_e32 v[26:27], s[14:15], v[112:113]
	v_fmac_f64_e32 v[28:29], s[10:11], v[114:115]
	;; [unrolled: 1-line block ×3, first 2 shown]
	v_add_f64 v[114:115], v[0:1], v[12:13]
	v_fmac_f64_e32 v[18:19], -0.5, v[114:115]
	v_fma_f64 v[114:115], s[12:13], v[112:113], v[18:19]
	v_fmac_f64_e32 v[18:19], s[2:3], v[112:113]
	v_fmac_f64_e32 v[114:115], s[8:9], v[16:17]
	;; [unrolled: 1-line block ×3, first 2 shown]
	v_add_f64 v[16:17], v[20:21], v[2:3]
	v_add_f64 v[16:17], v[16:17], v[6:7]
	v_fmac_f64_e32 v[120:121], s[10:11], v[124:125]
	v_fmac_f64_e32 v[74:75], s[10:11], v[124:125]
	v_add_f64 v[116:117], v[4:5], -v[0:1]
	v_add_f64 v[124:125], v[8:9], -v[12:13]
	v_add_f64 v[16:17], v[16:17], v[10:11]
	v_add_f64 v[116:117], v[116:117], v[124:125]
	;; [unrolled: 1-line block ×4, first 2 shown]
	v_fmac_f64_e32 v[114:115], s[10:11], v[116:117]
	v_fmac_f64_e32 v[18:19], s[10:11], v[116:117]
	v_fma_f64 v[116:117], -0.5, v[16:17], v[20:21]
	v_add_f64 v[0:1], v[0:1], -v[12:13]
	v_fma_f64 v[124:125], s[12:13], v[0:1], v[116:117]
	v_add_f64 v[4:5], v[4:5], -v[8:9]
	v_add_f64 v[8:9], v[2:3], -v[6:7]
	;; [unrolled: 1-line block ×3, first 2 shown]
	v_fmac_f64_e32 v[116:117], s[2:3], v[0:1]
	v_fmac_f64_e32 v[124:125], s[14:15], v[4:5]
	v_add_f64 v[8:9], v[8:9], v[12:13]
	v_fmac_f64_e32 v[116:117], s[8:9], v[4:5]
	v_fmac_f64_e32 v[124:125], s[10:11], v[8:9]
	v_fmac_f64_e32 v[116:117], s[10:11], v[8:9]
	v_add_f64 v[8:9], v[2:3], v[14:15]
	v_fmac_f64_e32 v[20:21], -0.5, v[8:9]
	v_fma_f64 v[136:137], s[2:3], v[4:5], v[20:21]
	v_add_f64 v[2:3], v[6:7], -v[2:3]
	v_add_f64 v[6:7], v[10:11], -v[14:15]
	v_fmac_f64_e32 v[136:137], s[14:15], v[0:1]
	v_add_f64 v[2:3], v[2:3], v[6:7]
	v_fmac_f64_e32 v[136:137], s[10:11], v[2:3]
	v_fmac_f64_e32 v[20:21], s[12:13], v[4:5]
	v_fmac_f64_e32 v[20:21], s[8:9], v[0:1]
	v_add_f64 v[8:9], v[64:65], v[24:25]
	v_mul_f64 v[140:141], v[28:29], s[22:23]
	v_mul_f64 v[142:143], v[136:137], s[2:3]
	;; [unrolled: 1-line block ×3, first 2 shown]
	v_add_f64 v[28:29], v[64:65], -v[24:25]
	v_add_f64 v[64:65], v[70:71], v[78:79]
	v_fmac_f64_e32 v[20:21], s[10:11], v[2:3]
	v_fmac_f64_e32 v[142:143], s[10:11], v[114:115]
	v_mul_f64 v[144:145], v[18:19], s[20:21]
	v_mul_f64 v[114:115], v[114:115], s[12:13]
	v_add_f64 v[64:65], v[64:65], v[82:83]
	v_fmac_f64_e32 v[144:145], s[2:3], v[20:21]
	v_mul_f64 v[146:147], v[26:27], s[18:19]
	v_fmac_f64_e32 v[114:115], s[10:11], v[136:137]
	v_mul_f64 v[136:137], v[20:21], s[20:21]
	s_waitcnt lgkmcnt(13)
	v_add_f64 v[64:65], v[64:65], v[86:87]
	v_fmac_f64_e32 v[140:141], s[8:9], v[124:125]
	v_add_f64 v[16:17], v[74:75], v[144:145]
	v_fmac_f64_e32 v[146:147], s[8:9], v[116:117]
	v_fmac_f64_e32 v[148:149], s[22:23], v[124:125]
	;; [unrolled: 1-line block ×3, first 2 shown]
	v_mul_f64 v[116:117], v[116:117], s[18:19]
	v_add_f64 v[124:125], v[74:75], -v[144:145]
	s_waitcnt lgkmcnt(11)
	v_add_f64 v[74:75], v[64:65], v[106:107]
	v_add_f64 v[64:65], v[82:83], v[86:87]
	;; [unrolled: 1-line block ×6, first 2 shown]
	v_fmac_f64_e32 v[116:117], s[14:15], v[26:27]
	v_add_f64 v[20:21], v[120:121], -v[142:143]
	v_add_f64 v[120:121], v[30:31], -v[146:147]
	;; [unrolled: 1-line block ×4, first 2 shown]
	v_fma_f64 v[76:77], -0.5, v[64:65], v[70:71]
	v_add_f64 v[64:65], v[80:81], -v[108:109]
	v_add_f64 v[6:7], v[22:23], v[148:149]
	v_add_f64 v[2:3], v[110:111], v[114:115]
	;; [unrolled: 1-line block ×3, first 2 shown]
	v_add_f64 v[26:27], v[22:23], -v[148:149]
	v_add_f64 v[22:23], v[110:111], -v[114:115]
	;; [unrolled: 1-line block ×3, first 2 shown]
	v_fma_f64 v[114:115], s[2:3], v[64:65], v[76:77]
	v_add_f64 v[110:111], v[84:85], -v[88:89]
	v_add_f64 v[112:113], v[78:79], -v[82:83]
	;; [unrolled: 1-line block ×3, first 2 shown]
	v_fmac_f64_e32 v[76:77], s[12:13], v[64:65]
	v_fmac_f64_e32 v[114:115], s[8:9], v[110:111]
	v_add_f64 v[112:113], v[112:113], v[116:117]
	v_fmac_f64_e32 v[76:77], s[14:15], v[110:111]
	v_fmac_f64_e32 v[114:115], s[10:11], v[112:113]
	;; [unrolled: 1-line block ×3, first 2 shown]
	v_add_f64 v[112:113], v[78:79], v[106:107]
	v_fmac_f64_e32 v[70:71], -0.5, v[112:113]
	v_add_f64 v[4:5], v[118:119], v[140:141]
	v_add_f64 v[24:25], v[118:119], -v[140:141]
	v_fma_f64 v[118:119], s[12:13], v[110:111], v[70:71]
	v_fmac_f64_e32 v[70:71], s[2:3], v[110:111]
	v_fmac_f64_e32 v[118:119], s[8:9], v[64:65]
	v_fmac_f64_e32 v[70:71], s[14:15], v[64:65]
	v_add_f64 v[64:65], v[72:73], v[80:81]
	v_add_f64 v[112:113], v[82:83], -v[78:79]
	v_add_f64 v[116:117], v[86:87], -v[106:107]
	v_add_f64 v[64:65], v[64:65], v[84:85]
	v_add_f64 v[112:113], v[112:113], v[116:117]
	;; [unrolled: 1-line block ×3, first 2 shown]
	v_fmac_f64_e32 v[118:119], s[10:11], v[112:113]
	v_fmac_f64_e32 v[70:71], s[10:11], v[112:113]
	v_add_f64 v[112:113], v[64:65], v[108:109]
	v_add_f64 v[64:65], v[84:85], v[88:89]
	v_fma_f64 v[110:111], -0.5, v[64:65], v[72:73]
	v_add_f64 v[64:65], v[78:79], -v[106:107]
	v_fma_f64 v[106:107], s[12:13], v[64:65], v[110:111]
	v_add_f64 v[78:79], v[82:83], -v[86:87]
	v_add_f64 v[82:83], v[80:81], -v[84:85]
	;; [unrolled: 1-line block ×3, first 2 shown]
	v_fmac_f64_e32 v[110:111], s[2:3], v[64:65]
	v_fmac_f64_e32 v[106:107], s[14:15], v[78:79]
	v_add_f64 v[82:83], v[82:83], v[86:87]
	v_fmac_f64_e32 v[110:111], s[8:9], v[78:79]
	v_fmac_f64_e32 v[106:107], s[10:11], v[82:83]
	v_fmac_f64_e32 v[110:111], s[10:11], v[82:83]
	v_add_f64 v[82:83], v[80:81], v[108:109]
	v_fmac_f64_e32 v[72:73], -0.5, v[82:83]
	v_fma_f64 v[116:117], s[2:3], v[78:79], v[72:73]
	v_fmac_f64_e32 v[72:73], s[12:13], v[78:79]
	v_fmac_f64_e32 v[116:117], s[14:15], v[64:65]
	;; [unrolled: 1-line block ×3, first 2 shown]
	v_add_f64 v[64:65], v[66:67], v[48:49]
	v_add_f64 v[64:65], v[64:65], v[52:53]
	v_add_f64 v[80:81], v[84:85], -v[80:81]
	v_add_f64 v[82:83], v[88:89], -v[108:109]
	v_add_f64 v[64:65], v[64:65], v[56:57]
	v_add_f64 v[80:81], v[80:81], v[82:83]
	s_waitcnt lgkmcnt(10)
	v_add_f64 v[78:79], v[64:65], v[60:61]
	v_add_f64 v[64:65], v[52:53], v[56:57]
	v_fmac_f64_e32 v[116:117], s[10:11], v[80:81]
	v_fmac_f64_e32 v[72:73], s[10:11], v[80:81]
	v_fma_f64 v[80:81], -0.5, v[64:65], v[66:67]
	v_add_f64 v[64:65], v[50:51], -v[62:63]
	v_fma_f64 v[86:87], s[2:3], v[64:65], v[80:81]
	v_add_f64 v[82:83], v[54:55], -v[58:59]
	v_add_f64 v[84:85], v[48:49], -v[52:53]
	;; [unrolled: 1-line block ×3, first 2 shown]
	v_fmac_f64_e32 v[80:81], s[12:13], v[64:65]
	v_fmac_f64_e32 v[86:87], s[8:9], v[82:83]
	v_add_f64 v[84:85], v[84:85], v[88:89]
	v_fmac_f64_e32 v[80:81], s[14:15], v[82:83]
	v_fmac_f64_e32 v[86:87], s[10:11], v[84:85]
	;; [unrolled: 1-line block ×3, first 2 shown]
	v_add_f64 v[84:85], v[48:49], v[60:61]
	v_fmac_f64_e32 v[66:67], -0.5, v[84:85]
	v_fma_f64 v[88:89], s[12:13], v[82:83], v[66:67]
	v_fmac_f64_e32 v[66:67], s[2:3], v[82:83]
	v_fmac_f64_e32 v[88:89], s[8:9], v[64:65]
	;; [unrolled: 1-line block ×3, first 2 shown]
	v_add_f64 v[64:65], v[68:69], v[50:51]
	v_add_f64 v[84:85], v[52:53], -v[48:49]
	v_add_f64 v[108:109], v[56:57], -v[60:61]
	v_add_f64 v[64:65], v[64:65], v[54:55]
	v_add_f64 v[84:85], v[84:85], v[108:109]
	;; [unrolled: 1-line block ×3, first 2 shown]
	v_fmac_f64_e32 v[88:89], s[10:11], v[84:85]
	v_fmac_f64_e32 v[66:67], s[10:11], v[84:85]
	v_add_f64 v[84:85], v[64:65], v[62:63]
	v_add_f64 v[64:65], v[54:55], v[58:59]
	v_fma_f64 v[82:83], -0.5, v[64:65], v[68:69]
	v_add_f64 v[48:49], v[48:49], -v[60:61]
	v_fma_f64 v[108:109], s[12:13], v[48:49], v[82:83]
	v_add_f64 v[52:53], v[52:53], -v[56:57]
	v_add_f64 v[56:57], v[50:51], -v[54:55]
	;; [unrolled: 1-line block ×3, first 2 shown]
	v_fmac_f64_e32 v[82:83], s[2:3], v[48:49]
	v_fmac_f64_e32 v[108:109], s[14:15], v[52:53]
	v_add_f64 v[56:57], v[56:57], v[60:61]
	v_fmac_f64_e32 v[82:83], s[8:9], v[52:53]
	v_fmac_f64_e32 v[108:109], s[10:11], v[56:57]
	;; [unrolled: 1-line block ×3, first 2 shown]
	v_add_f64 v[56:57], v[50:51], v[62:63]
	v_fmac_f64_e32 v[68:69], -0.5, v[56:57]
	v_fma_f64 v[136:137], s[2:3], v[52:53], v[68:69]
	v_add_f64 v[50:51], v[54:55], -v[50:51]
	v_add_f64 v[54:55], v[58:59], -v[62:63]
	v_fmac_f64_e32 v[136:137], s[14:15], v[48:49]
	v_add_f64 v[50:51], v[50:51], v[54:55]
	v_fmac_f64_e32 v[68:69], s[12:13], v[52:53]
	v_fmac_f64_e32 v[136:137], s[10:11], v[50:51]
	;; [unrolled: 1-line block ×4, first 2 shown]
	v_mul_f64 v[140:141], v[86:87], s[22:23]
	v_mul_f64 v[142:143], v[136:137], s[2:3]
	;; [unrolled: 1-line block ×3, first 2 shown]
	v_fmac_f64_e32 v[140:141], s[8:9], v[108:109]
	v_fmac_f64_e32 v[142:143], s[10:11], v[88:89]
	v_mul_f64 v[144:145], v[66:67], s[20:21]
	v_fmac_f64_e32 v[148:149], s[22:23], v[108:109]
	v_mul_f64 v[88:89], v[88:89], s[12:13]
	v_mul_f64 v[108:109], v[68:69], s[20:21]
	v_fmac_f64_e32 v[144:145], s[2:3], v[68:69]
	v_fmac_f64_e32 v[88:89], s[10:11], v[136:137]
	v_fmac_f64_e32 v[108:109], s[12:13], v[66:67]
	v_add_f64 v[64:65], v[70:71], v[144:145]
	v_add_f64 v[50:51], v[116:117], v[88:89]
	;; [unrolled: 1-line block ×3, first 2 shown]
	v_add_f64 v[86:87], v[70:71], -v[144:145]
	v_add_f64 v[70:71], v[116:117], -v[88:89]
	;; [unrolled: 1-line block ×3, first 2 shown]
	s_waitcnt lgkmcnt(7)
	v_add_f64 v[72:73], v[128:129], v[90:91]
	v_mul_f64 v[136:137], v[82:83], s[18:19]
	s_waitcnt lgkmcnt(5)
	v_add_f64 v[72:73], v[72:73], v[94:95]
	v_mul_f64 v[146:147], v[80:81], s[18:19]
	v_fmac_f64_e32 v[136:137], s[14:15], v[80:81]
	s_waitcnt lgkmcnt(3)
	v_add_f64 v[72:73], v[72:73], v[98:99]
	v_fmac_f64_e32 v[146:147], s[8:9], v[82:83]
	v_add_f64 v[58:59], v[112:113], v[84:85]
	v_add_f64 v[62:63], v[110:111], v[136:137]
	v_add_f64 v[80:81], v[112:113], -v[84:85]
	v_add_f64 v[84:85], v[110:111], -v[136:137]
	s_waitcnt lgkmcnt(1)
	v_add_f64 v[110:111], v[72:73], v[102:103]
	v_add_f64 v[72:73], v[94:95], v[98:99]
	;; [unrolled: 1-line block ×4, first 2 shown]
	v_add_f64 v[82:83], v[76:77], -v[146:147]
	v_add_f64 v[76:77], v[106:107], -v[148:149]
	v_fma_f64 v[106:107], -0.5, v[72:73], v[128:129]
	v_add_f64 v[72:73], v[92:93], -v[104:105]
	v_add_f64 v[56:57], v[74:75], v[78:79]
	v_add_f64 v[52:53], v[114:115], v[140:141]
	v_add_f64 v[78:79], v[74:75], -v[78:79]
	v_add_f64 v[74:75], v[114:115], -v[140:141]
	v_fma_f64 v[116:117], s[2:3], v[72:73], v[106:107]
	v_add_f64 v[108:109], v[96:97], -v[100:101]
	v_add_f64 v[112:113], v[90:91], -v[94:95]
	;; [unrolled: 1-line block ×3, first 2 shown]
	v_fmac_f64_e32 v[106:107], s[12:13], v[72:73]
	v_fmac_f64_e32 v[116:117], s[8:9], v[108:109]
	v_add_f64 v[112:113], v[112:113], v[114:115]
	v_fmac_f64_e32 v[106:107], s[14:15], v[108:109]
	v_fmac_f64_e32 v[116:117], s[10:11], v[112:113]
	;; [unrolled: 1-line block ×3, first 2 shown]
	v_add_f64 v[112:113], v[90:91], v[102:103]
	v_fmac_f64_e32 v[128:129], -0.5, v[112:113]
	v_fma_f64 v[136:137], s[12:13], v[108:109], v[128:129]
	v_fmac_f64_e32 v[128:129], s[2:3], v[108:109]
	v_fmac_f64_e32 v[136:137], s[8:9], v[72:73]
	;; [unrolled: 1-line block ×3, first 2 shown]
	v_add_f64 v[72:73], v[130:131], v[92:93]
	v_add_f64 v[112:113], v[94:95], -v[90:91]
	v_add_f64 v[114:115], v[98:99], -v[102:103]
	v_add_f64 v[72:73], v[72:73], v[96:97]
	v_add_f64 v[112:113], v[112:113], v[114:115]
	v_add_f64 v[72:73], v[72:73], v[100:101]
	v_fmac_f64_e32 v[136:137], s[10:11], v[112:113]
	v_fmac_f64_e32 v[128:129], s[10:11], v[112:113]
	v_add_f64 v[112:113], v[72:73], v[104:105]
	v_add_f64 v[72:73], v[96:97], v[100:101]
	v_fma_f64 v[72:73], -0.5, v[72:73], v[130:131]
	v_add_f64 v[90:91], v[90:91], -v[102:103]
	v_fma_f64 v[114:115], s[12:13], v[90:91], v[72:73]
	v_add_f64 v[94:95], v[94:95], -v[98:99]
	v_add_f64 v[98:99], v[92:93], -v[96:97]
	;; [unrolled: 1-line block ×3, first 2 shown]
	v_fmac_f64_e32 v[72:73], s[2:3], v[90:91]
	v_fmac_f64_e32 v[114:115], s[14:15], v[94:95]
	v_add_f64 v[98:99], v[98:99], v[102:103]
	v_fmac_f64_e32 v[72:73], s[8:9], v[94:95]
	v_fmac_f64_e32 v[114:115], s[10:11], v[98:99]
	;; [unrolled: 1-line block ×3, first 2 shown]
	v_add_f64 v[98:99], v[92:93], v[104:105]
	v_fmac_f64_e32 v[130:131], -0.5, v[98:99]
	v_add_f64 v[48:49], v[118:119], v[142:143]
	v_add_f64 v[68:69], v[118:119], -v[142:143]
	v_fma_f64 v[118:119], s[2:3], v[94:95], v[130:131]
	v_fmac_f64_e32 v[130:131], s[12:13], v[94:95]
	v_fmac_f64_e32 v[118:119], s[14:15], v[90:91]
	;; [unrolled: 1-line block ×3, first 2 shown]
	v_add_f64 v[90:91], v[132:133], v[32:33]
	v_add_f64 v[90:91], v[90:91], v[36:37]
	;; [unrolled: 1-line block ×3, first 2 shown]
	v_add_f64 v[92:93], v[96:97], -v[92:93]
	v_add_f64 v[96:97], v[100:101], -v[104:105]
	s_waitcnt lgkmcnt(0)
	v_add_f64 v[94:95], v[90:91], v[44:45]
	v_add_f64 v[90:91], v[36:37], v[40:41]
	;; [unrolled: 1-line block ×3, first 2 shown]
	v_fma_f64 v[96:97], -0.5, v[90:91], v[132:133]
	v_add_f64 v[90:91], v[34:35], -v[46:47]
	v_fmac_f64_e32 v[118:119], s[10:11], v[92:93]
	v_fmac_f64_e32 v[130:131], s[10:11], v[92:93]
	v_fma_f64 v[92:93], s[2:3], v[90:91], v[96:97]
	v_add_f64 v[98:99], v[38:39], -v[42:43]
	v_add_f64 v[100:101], v[32:33], -v[36:37]
	;; [unrolled: 1-line block ×3, first 2 shown]
	v_fmac_f64_e32 v[96:97], s[12:13], v[90:91]
	v_fmac_f64_e32 v[92:93], s[8:9], v[98:99]
	v_add_f64 v[100:101], v[100:101], v[102:103]
	v_fmac_f64_e32 v[96:97], s[14:15], v[98:99]
	v_fmac_f64_e32 v[92:93], s[10:11], v[100:101]
	;; [unrolled: 1-line block ×3, first 2 shown]
	v_add_f64 v[100:101], v[32:33], v[44:45]
	v_fmac_f64_e32 v[132:133], -0.5, v[100:101]
	v_fma_f64 v[102:103], s[12:13], v[98:99], v[132:133]
	v_fmac_f64_e32 v[132:133], s[2:3], v[98:99]
	v_fmac_f64_e32 v[102:103], s[8:9], v[90:91]
	;; [unrolled: 1-line block ×3, first 2 shown]
	v_add_f64 v[90:91], v[134:135], v[34:35]
	v_add_f64 v[100:101], v[36:37], -v[32:33]
	v_add_f64 v[104:105], v[40:41], -v[44:45]
	v_add_f64 v[90:91], v[90:91], v[38:39]
	v_add_f64 v[100:101], v[100:101], v[104:105]
	v_add_f64 v[90:91], v[90:91], v[42:43]
	v_fmac_f64_e32 v[102:103], s[10:11], v[100:101]
	v_fmac_f64_e32 v[132:133], s[10:11], v[100:101]
	v_add_f64 v[100:101], v[90:91], v[46:47]
	v_add_f64 v[90:91], v[38:39], v[42:43]
	v_fma_f64 v[98:99], -0.5, v[90:91], v[134:135]
	v_add_f64 v[32:33], v[32:33], -v[44:45]
	v_fma_f64 v[104:105], s[12:13], v[32:33], v[98:99]
	v_add_f64 v[36:37], v[36:37], -v[40:41]
	v_add_f64 v[40:41], v[34:35], -v[38:39]
	;; [unrolled: 1-line block ×3, first 2 shown]
	v_fmac_f64_e32 v[98:99], s[2:3], v[32:33]
	v_fmac_f64_e32 v[104:105], s[14:15], v[36:37]
	v_add_f64 v[40:41], v[40:41], v[44:45]
	v_fmac_f64_e32 v[98:99], s[8:9], v[36:37]
	v_fmac_f64_e32 v[104:105], s[10:11], v[40:41]
	;; [unrolled: 1-line block ×3, first 2 shown]
	v_add_f64 v[40:41], v[34:35], v[46:47]
	v_fmac_f64_e32 v[134:135], -0.5, v[40:41]
	v_fma_f64 v[108:109], s[2:3], v[36:37], v[134:135]
	v_add_f64 v[34:35], v[38:39], -v[34:35]
	v_add_f64 v[38:39], v[42:43], -v[46:47]
	v_fmac_f64_e32 v[108:109], s[14:15], v[32:33]
	v_add_f64 v[34:35], v[34:35], v[38:39]
	v_fmac_f64_e32 v[108:109], s[10:11], v[34:35]
	v_mul_f64 v[150:151], v[102:103], s[12:13]
	v_mul_f64 v[142:143], v[108:109], s[2:3]
	v_fmac_f64_e32 v[150:151], s[10:11], v[108:109]
	v_mul_f64 v[108:109], v[98:99], s[18:19]
	v_fmac_f64_e32 v[134:135], s[12:13], v[36:37]
	v_fmac_f64_e32 v[108:109], s[14:15], v[96:97]
	;; [unrolled: 1-line block ×3, first 2 shown]
	v_add_f64 v[46:47], v[72:73], v[108:109]
	v_add_f64 v[108:109], v[72:73], -v[108:109]
	v_mul_lo_u16_e32 v72, 10, v240
	v_fmac_f64_e32 v[134:135], s[10:11], v[34:35]
	v_mul_f64 v[144:145], v[132:133], s[20:21]
	v_lshl_add_u32 v139, v72, 4, v246
	v_mul_f64 v[140:141], v[92:93], s[22:23]
	v_fmac_f64_e32 v[142:143], s[10:11], v[102:103]
	v_fmac_f64_e32 v[144:145], s[2:3], v[134:135]
	v_mul_f64 v[146:147], v[96:97], s[18:19]
	v_mul_f64 v[148:149], v[92:93], s[14:15]
	;; [unrolled: 1-line block ×3, first 2 shown]
	s_waitcnt lgkmcnt(0)
	; wave barrier
	ds_write_b128 v139, v[8:11]
	ds_write_b128 v139, v[4:7] offset:16
	ds_write_b128 v139, v[0:3] offset:32
	;; [unrolled: 1-line block ×9, first 2 shown]
	v_mul_u32_u24_e32 v0, 10, v247
	v_add_f64 v[40:41], v[110:111], v[94:95]
	v_fmac_f64_e32 v[140:141], s[8:9], v[104:105]
	v_add_f64 v[32:33], v[136:137], v[142:143]
	v_fmac_f64_e32 v[146:147], s[8:9], v[98:99]
	v_fmac_f64_e32 v[148:149], s[22:23], v[104:105]
	;; [unrolled: 1-line block ×3, first 2 shown]
	v_add_f64 v[102:103], v[110:111], -v[94:95]
	v_add_f64 v[94:95], v[136:137], -v[142:143]
	v_lshl_add_u32 v137, v0, 4, v246
	v_mul_u32_u24_e32 v0, 10, v245
	v_add_f64 v[36:37], v[116:117], v[140:141]
	v_add_f64 v[90:91], v[128:129], v[144:145]
	v_add_f64 v[44:45], v[106:107], v[146:147]
	v_add_f64 v[42:43], v[112:113], v[100:101]
	v_add_f64 v[38:39], v[114:115], v[148:149]
	v_add_f64 v[34:35], v[118:119], v[150:151]
	v_add_f64 v[92:93], v[130:131], v[134:135]
	v_add_f64 v[98:99], v[116:117], -v[140:141]
	v_add_f64 v[110:111], v[128:129], -v[144:145]
	;; [unrolled: 1-line block ×7, first 2 shown]
	v_lshl_add_u32 v136, v0, 4, v246
	v_lshlrev_b32_e32 v116, 6, v240
	ds_write_b128 v137, v[56:59]
	ds_write_b128 v137, v[52:55] offset:16
	ds_write_b128 v137, v[48:51] offset:32
	;; [unrolled: 1-line block ×9, first 2 shown]
	ds_write_b128 v136, v[40:43]
	ds_write_b128 v136, v[36:39] offset:16
	ds_write_b128 v136, v[32:35] offset:32
	;; [unrolled: 1-line block ×9, first 2 shown]
	s_waitcnt lgkmcnt(0)
	; wave barrier
	s_waitcnt lgkmcnt(0)
	ds_read_b128 v[16:19], v185
	ds_read_b128 v[112:115], v185 offset:480
	ds_read_b128 v[108:111], v185 offset:960
	;; [unrolled: 1-line block ×29, first 2 shown]
	global_load_dwordx4 v[204:207], v116, s[6:7] offset:48
	global_load_dwordx4 v[160:163], v116, s[6:7] offset:32
	;; [unrolled: 1-line block ×3, first 2 shown]
	global_load_dwordx4 v[144:147], v116, s[6:7]
	s_waitcnt vmcnt(3) lgkmcnt(14)
	v_mul_f64 v[170:171], v[68:69], v[206:207]
	s_waitcnt vmcnt(2)
	v_mul_f64 v[168:169], v[72:73], v[162:163]
	s_waitcnt vmcnt(1)
	;; [unrolled: 2-line block ×3, first 2 shown]
	v_mul_f64 v[116:117], v[114:115], v[146:147]
	v_fma_f64 v[116:117], v[112:113], v[144:145], -v[116:117]
	v_mul_f64 v[112:113], v[112:113], v[146:147]
	v_fmac_f64_e32 v[112:113], v[114:115], v[144:145]
	v_mul_f64 v[114:115], v[110:111], v[134:135]
	v_fma_f64 v[118:119], v[108:109], v[132:133], -v[114:115]
	v_mul_f64 v[108:109], v[108:109], v[134:135]
	v_fmac_f64_e32 v[108:109], v[110:111], v[132:133]
	v_mul_f64 v[110:111], v[106:107], v[162:163]
	v_fma_f64 v[120:121], v[104:105], v[160:161], -v[110:111]
	v_mul_f64 v[104:105], v[104:105], v[162:163]
	v_fmac_f64_e32 v[104:105], v[106:107], v[160:161]
	v_mul_f64 v[106:107], v[102:103], v[206:207]
	v_fma_f64 v[122:123], v[100:101], v[204:205], -v[106:107]
	v_mul_f64 v[110:111], v[100:101], v[206:207]
	v_lshlrev_b32_e32 v100, 6, v247
	global_load_dwordx4 v[156:159], v100, s[6:7] offset:48
	global_load_dwordx4 v[128:131], v100, s[6:7] offset:32
	;; [unrolled: 1-line block ×3, first 2 shown]
	global_load_dwordx4 v[148:151], v100, s[6:7]
	v_mul_f64 v[164:165], v[80:81], v[146:147]
	v_fmac_f64_e32 v[110:111], v[102:103], v[204:205]
	v_fmac_f64_e32 v[164:165], v[82:83], v[144:145]
	;; [unrolled: 1-line block ×5, first 2 shown]
	s_waitcnt vmcnt(3)
	v_mul_f64 v[190:191], v[84:85], v[158:159]
	s_waitcnt vmcnt(2)
	v_mul_f64 v[188:189], v[88:89], v[130:131]
	;; [unrolled: 2-line block ×4, first 2 shown]
	v_fma_f64 v[192:193], v[96:97], v[148:149], -v[100:101]
	v_mul_f64 v[180:181], v[96:97], v[150:151]
	v_mul_f64 v[96:97], v[94:95], v[142:143]
	v_fma_f64 v[194:195], v[92:93], v[140:141], -v[96:97]
	v_mul_f64 v[92:93], v[90:91], v[130:131]
	v_fma_f64 v[196:197], v[88:89], v[128:129], -v[92:93]
	;; [unrolled: 2-line block ×7, first 2 shown]
	s_waitcnt lgkmcnt(13)
	v_mul_f64 v[68:69], v[66:67], v[150:151]
	v_fma_f64 v[100:101], v[64:65], v[148:149], -v[68:69]
	v_mul_f64 v[92:93], v[64:65], v[150:151]
	s_waitcnt lgkmcnt(12)
	v_mul_f64 v[64:65], v[62:63], v[142:143]
	v_fmac_f64_e32 v[182:183], v[94:95], v[140:141]
	v_fma_f64 v[102:103], v[60:61], v[140:141], -v[64:65]
	v_mul_f64 v[94:95], v[60:61], v[142:143]
	s_waitcnt lgkmcnt(11)
	v_mul_f64 v[60:61], v[58:59], v[130:131]
	v_fma_f64 v[106:107], v[56:57], v[128:129], -v[60:61]
	v_mul_f64 v[96:97], v[56:57], v[130:131]
	s_waitcnt lgkmcnt(10)
	v_mul_f64 v[56:57], v[54:55], v[158:159]
	v_fmac_f64_e32 v[180:181], v[98:99], v[148:149]
	v_fma_f64 v[114:115], v[52:53], v[156:157], -v[56:57]
	v_mul_f64 v[98:99], v[52:53], v[158:159]
	v_mul_lo_u16_sdwa v52, v244, s24 dst_sel:DWORD dst_unused:UNUSED_PAD src0_sel:BYTE_0 src1_sel:DWORD
	v_lshrrev_b16_e32 v52, 11, v52
	v_mul_lo_u16_e32 v52, 10, v52
	v_sub_u16_e32 v124, v244, v52
	v_lshlrev_b16_e32 v52, 2, v124
	v_and_b32_e32 v52, 0xfc, v52
	v_lshlrev_b32_e32 v52, 4, v52
	v_fmac_f64_e32 v[92:93], v[66:67], v[148:149]
	v_fmac_f64_e32 v[94:95], v[62:63], v[140:141]
	;; [unrolled: 1-line block ×4, first 2 shown]
	global_load_dwordx4 v[54:57], v52, s[6:7] offset:48
	global_load_dwordx4 v[58:61], v52, s[6:7] offset:32
	;; [unrolled: 1-line block ×3, first 2 shown]
	global_load_dwordx4 v[66:69], v52, s[6:7]
	v_fmac_f64_e32 v[188:189], v[90:91], v[128:129]
	v_fmac_f64_e32 v[190:191], v[86:87], v[156:157]
	s_waitcnt vmcnt(3) lgkmcnt(5)
	v_mul_f64 v[220:221], v[36:37], v[56:57]
	s_waitcnt vmcnt(2)
	v_mul_f64 v[216:217], v[40:41], v[60:61]
	s_waitcnt vmcnt(1)
	;; [unrolled: 2-line block ×3, first 2 shown]
	v_mul_f64 v[52:53], v[50:51], v[68:69]
	v_fma_f64 v[212:213], v[48:49], v[66:67], -v[52:53]
	v_mul_f64 v[200:201], v[48:49], v[68:69]
	v_mul_f64 v[48:49], v[46:47], v[64:65]
	v_fma_f64 v[214:215], v[44:45], v[62:63], -v[48:49]
	v_mul_f64 v[44:45], v[42:43], v[60:61]
	v_fma_f64 v[218:219], v[40:41], v[58:59], -v[44:45]
	;; [unrolled: 2-line block ×3, first 2 shown]
	v_mul_lo_u16_sdwa v36, v186, s24 dst_sel:DWORD dst_unused:UNUSED_PAD src0_sel:BYTE_0 src1_sel:DWORD
	v_lshrrev_b16_e32 v36, 11, v36
	v_mul_lo_u16_e32 v36, 10, v36
	v_sub_u16_e32 v125, v186, v36
	v_lshlrev_b16_e32 v36, 2, v125
	v_and_b32_e32 v36, 0xfc, v36
	v_lshlrev_b32_e32 v36, 4, v36
	v_fmac_f64_e32 v[200:201], v[50:51], v[66:67]
	v_fmac_f64_e32 v[202:203], v[46:47], v[62:63]
	;; [unrolled: 1-line block ×4, first 2 shown]
	global_load_dwordx4 v[38:41], v36, s[6:7] offset:48
	global_load_dwordx4 v[42:45], v36, s[6:7] offset:32
	;; [unrolled: 1-line block ×3, first 2 shown]
	global_load_dwordx4 v[50:53], v36, s[6:7]
	v_accvgpr_write_b32 a135, v65
	v_accvgpr_write_b32 a134, v64
	;; [unrolled: 1-line block ×16, first 2 shown]
	s_waitcnt lgkmcnt(0)
	; wave barrier
	s_waitcnt vmcnt(3) lgkmcnt(0)
	v_mul_f64 v[234:235], v[20:21], v[40:41]
	s_waitcnt vmcnt(2)
	v_mul_f64 v[230:231], v[24:25], v[44:45]
	s_waitcnt vmcnt(1)
	;; [unrolled: 2-line block ×3, first 2 shown]
	v_mul_f64 v[36:37], v[34:35], v[52:53]
	v_fma_f64 v[228:229], v[32:33], v[50:51], -v[36:37]
	v_mul_f64 v[222:223], v[32:33], v[52:53]
	v_mul_f64 v[32:33], v[30:31], v[48:49]
	v_fma_f64 v[232:233], v[28:29], v[46:47], -v[32:33]
	v_mul_f64 v[28:29], v[26:27], v[44:45]
	v_fma_f64 v[236:237], v[24:25], v[42:43], -v[28:29]
	;; [unrolled: 2-line block ×3, first 2 shown]
	v_add_f64 v[20:21], v[16:17], v[116:117]
	v_add_f64 v[20:21], v[20:21], v[118:119]
	;; [unrolled: 1-line block ×5, first 2 shown]
	v_fma_f64 v[64:65], -0.5, v[20:21], v[16:17]
	v_add_f64 v[20:21], v[112:113], -v[110:111]
	v_fmac_f64_e32 v[230:231], v[26:27], v[42:43]
	v_fmac_f64_e32 v[234:235], v[22:23], v[38:39]
	v_fma_f64 v[80:81], s[2:3], v[20:21], v[64:65]
	v_add_f64 v[22:23], v[108:109], -v[104:105]
	v_add_f64 v[24:25], v[116:117], -v[118:119]
	v_add_f64 v[26:27], v[122:123], -v[120:121]
	v_fmac_f64_e32 v[64:65], s[12:13], v[20:21]
	v_fmac_f64_e32 v[80:81], s[8:9], v[22:23]
	v_add_f64 v[24:25], v[24:25], v[26:27]
	v_fmac_f64_e32 v[64:65], s[14:15], v[22:23]
	v_fmac_f64_e32 v[80:81], s[10:11], v[24:25]
	v_fmac_f64_e32 v[64:65], s[10:11], v[24:25]
	v_add_f64 v[24:25], v[116:117], v[122:123]
	v_fmac_f64_e32 v[16:17], -0.5, v[24:25]
	v_fma_f64 v[72:73], s[12:13], v[22:23], v[16:17]
	v_fmac_f64_e32 v[16:17], s[2:3], v[22:23]
	v_fmac_f64_e32 v[72:73], s[8:9], v[20:21]
	v_fmac_f64_e32 v[16:17], s[14:15], v[20:21]
	v_add_f64 v[20:21], v[18:19], v[112:113]
	v_add_f64 v[20:21], v[20:21], v[108:109]
	v_add_f64 v[20:21], v[20:21], v[104:105]
	v_add_f64 v[24:25], v[118:119], -v[116:117]
	v_add_f64 v[26:27], v[120:121], -v[122:123]
	v_add_f64 v[90:91], v[20:21], v[110:111]
	v_add_f64 v[20:21], v[108:109], v[104:105]
	v_add_f64 v[24:25], v[24:25], v[26:27]
	v_fma_f64 v[66:67], -0.5, v[20:21], v[18:19]
	v_add_f64 v[20:21], v[116:117], -v[122:123]
	v_fmac_f64_e32 v[72:73], s[10:11], v[24:25]
	v_fmac_f64_e32 v[16:17], s[10:11], v[24:25]
	v_fma_f64 v[82:83], s[12:13], v[20:21], v[66:67]
	v_add_f64 v[22:23], v[118:119], -v[120:121]
	v_add_f64 v[24:25], v[112:113], -v[108:109]
	v_add_f64 v[26:27], v[110:111], -v[104:105]
	v_fmac_f64_e32 v[66:67], s[2:3], v[20:21]
	v_fmac_f64_e32 v[82:83], s[14:15], v[22:23]
	v_add_f64 v[24:25], v[24:25], v[26:27]
	v_fmac_f64_e32 v[66:67], s[8:9], v[22:23]
	v_fmac_f64_e32 v[82:83], s[10:11], v[24:25]
	v_fmac_f64_e32 v[66:67], s[10:11], v[24:25]
	v_add_f64 v[24:25], v[112:113], v[110:111]
	v_fmac_f64_e32 v[18:19], -0.5, v[24:25]
	v_fma_f64 v[74:75], s[2:3], v[22:23], v[18:19]
	v_fmac_f64_e32 v[18:19], s[12:13], v[22:23]
	v_fmac_f64_e32 v[74:75], s[14:15], v[20:21]
	v_fmac_f64_e32 v[18:19], s[8:9], v[20:21]
	v_add_f64 v[20:21], v[152:153], v[192:193]
	v_add_f64 v[20:21], v[20:21], v[194:195]
	v_add_f64 v[20:21], v[20:21], v[196:197]
	v_add_f64 v[24:25], v[108:109], -v[112:113]
	v_add_f64 v[26:27], v[104:105], -v[110:111]
	v_add_f64 v[84:85], v[20:21], v[198:199]
	v_add_f64 v[20:21], v[194:195], v[196:197]
	v_add_f64 v[24:25], v[24:25], v[26:27]
	;; [unrolled: 28-line block ×3, first 2 shown]
	v_fma_f64 v[58:59], -0.5, v[20:21], v[154:155]
	v_add_f64 v[20:21], v[192:193], -v[198:199]
	v_fmac_f64_e32 v[68:69], s[10:11], v[24:25]
	v_fmac_f64_e32 v[152:153], s[10:11], v[24:25]
	v_fma_f64 v[78:79], s[12:13], v[20:21], v[58:59]
	v_add_f64 v[22:23], v[194:195], -v[196:197]
	v_add_f64 v[24:25], v[180:181], -v[182:183]
	;; [unrolled: 1-line block ×3, first 2 shown]
	v_fmac_f64_e32 v[58:59], s[2:3], v[20:21]
	v_fmac_f64_e32 v[78:79], s[14:15], v[22:23]
	v_add_f64 v[24:25], v[24:25], v[26:27]
	v_fmac_f64_e32 v[58:59], s[8:9], v[22:23]
	v_fmac_f64_e32 v[78:79], s[10:11], v[24:25]
	;; [unrolled: 1-line block ×3, first 2 shown]
	v_add_f64 v[24:25], v[180:181], v[190:191]
	v_fmac_f64_e32 v[154:155], -0.5, v[24:25]
	v_fma_f64 v[70:71], s[2:3], v[22:23], v[154:155]
	v_fmac_f64_e32 v[154:155], s[12:13], v[22:23]
	v_fmac_f64_e32 v[70:71], s[14:15], v[20:21]
	;; [unrolled: 1-line block ×3, first 2 shown]
	v_add_f64 v[20:21], v[12:13], v[172:173]
	v_add_f64 v[20:21], v[20:21], v[174:175]
	;; [unrolled: 1-line block ×3, first 2 shown]
	v_accvgpr_write_b32 a159, v41
	v_add_f64 v[24:25], v[182:183], -v[180:181]
	v_add_f64 v[26:27], v[188:189], -v[190:191]
	v_add_f64 v[60:61], v[20:21], v[178:179]
	v_add_f64 v[20:21], v[174:175], v[176:177]
	v_accvgpr_write_b32 a147, v53
	v_accvgpr_write_b32 a158, v40
	;; [unrolled: 1-line block ×4, first 2 shown]
	v_add_f64 v[24:25], v[24:25], v[26:27]
	v_fma_f64 v[40:41], -0.5, v[20:21], v[12:13]
	v_add_f64 v[20:21], v[164:165], -v[170:171]
	v_accvgpr_write_b32 a146, v52
	v_accvgpr_write_b32 a145, v51
	;; [unrolled: 1-line block ×3, first 2 shown]
	v_fmac_f64_e32 v[70:71], s[10:11], v[24:25]
	v_fmac_f64_e32 v[154:155], s[10:11], v[24:25]
	v_fma_f64 v[52:53], s[2:3], v[20:21], v[40:41]
	v_add_f64 v[22:23], v[166:167], -v[168:169]
	v_add_f64 v[24:25], v[172:173], -v[174:175]
	;; [unrolled: 1-line block ×3, first 2 shown]
	v_fmac_f64_e32 v[40:41], s[12:13], v[20:21]
	v_fmac_f64_e32 v[52:53], s[8:9], v[22:23]
	v_add_f64 v[24:25], v[24:25], v[26:27]
	v_fmac_f64_e32 v[40:41], s[14:15], v[22:23]
	v_fmac_f64_e32 v[52:53], s[10:11], v[24:25]
	;; [unrolled: 1-line block ×3, first 2 shown]
	v_add_f64 v[24:25], v[172:173], v[178:179]
	v_accvgpr_write_b32 a151, v49
	v_fmac_f64_e32 v[12:13], -0.5, v[24:25]
	v_accvgpr_write_b32 a150, v48
	v_accvgpr_write_b32 a149, v47
	;; [unrolled: 1-line block ×3, first 2 shown]
	v_fma_f64 v[48:49], s[12:13], v[22:23], v[12:13]
	v_fmac_f64_e32 v[12:13], s[2:3], v[22:23]
	v_fmac_f64_e32 v[48:49], s[8:9], v[20:21]
	;; [unrolled: 1-line block ×3, first 2 shown]
	v_add_f64 v[20:21], v[14:15], v[164:165]
	v_add_f64 v[20:21], v[20:21], v[166:167]
	;; [unrolled: 1-line block ×3, first 2 shown]
	v_accvgpr_write_b32 a155, v45
	v_add_f64 v[24:25], v[174:175], -v[172:173]
	v_add_f64 v[26:27], v[176:177], -v[178:179]
	v_add_f64 v[62:63], v[20:21], v[170:171]
	v_add_f64 v[20:21], v[166:167], v[168:169]
	v_accvgpr_write_b32 a154, v44
	v_accvgpr_write_b32 a153, v43
	;; [unrolled: 1-line block ×3, first 2 shown]
	v_add_f64 v[24:25], v[24:25], v[26:27]
	v_fma_f64 v[42:43], -0.5, v[20:21], v[14:15]
	v_add_f64 v[20:21], v[172:173], -v[178:179]
	v_fmac_f64_e32 v[48:49], s[10:11], v[24:25]
	v_fmac_f64_e32 v[12:13], s[10:11], v[24:25]
	v_fma_f64 v[54:55], s[12:13], v[20:21], v[42:43]
	v_add_f64 v[22:23], v[174:175], -v[176:177]
	v_add_f64 v[24:25], v[164:165], -v[166:167]
	;; [unrolled: 1-line block ×3, first 2 shown]
	v_fmac_f64_e32 v[42:43], s[2:3], v[20:21]
	v_fmac_f64_e32 v[54:55], s[14:15], v[22:23]
	v_add_f64 v[24:25], v[24:25], v[26:27]
	v_fmac_f64_e32 v[42:43], s[8:9], v[22:23]
	v_fmac_f64_e32 v[54:55], s[10:11], v[24:25]
	;; [unrolled: 1-line block ×3, first 2 shown]
	v_add_f64 v[24:25], v[164:165], v[170:171]
	v_fmac_f64_e32 v[14:15], -0.5, v[24:25]
	v_fmac_f64_e32 v[222:223], v[34:35], v[50:51]
	v_fma_f64 v[50:51], s[2:3], v[22:23], v[14:15]
	v_fmac_f64_e32 v[14:15], s[12:13], v[22:23]
	v_fmac_f64_e32 v[50:51], s[14:15], v[20:21]
	v_fmac_f64_e32 v[14:15], s[8:9], v[20:21]
	v_add_f64 v[20:21], v[8:9], v[100:101]
	v_add_f64 v[20:21], v[20:21], v[102:103]
	;; [unrolled: 1-line block ×3, first 2 shown]
	v_add_f64 v[24:25], v[166:167], -v[164:165]
	v_add_f64 v[26:27], v[168:169], -v[170:171]
	v_add_f64 v[44:45], v[20:21], v[114:115]
	v_add_f64 v[20:21], v[102:103], v[106:107]
	;; [unrolled: 1-line block ×3, first 2 shown]
	v_fma_f64 v[208:209], -0.5, v[20:21], v[8:9]
	v_add_f64 v[20:21], v[92:93], -v[98:99]
	v_fmac_f64_e32 v[50:51], s[10:11], v[24:25]
	v_fmac_f64_e32 v[14:15], s[10:11], v[24:25]
	v_fma_f64 v[36:37], s[2:3], v[20:21], v[208:209]
	v_add_f64 v[22:23], v[94:95], -v[96:97]
	v_add_f64 v[24:25], v[100:101], -v[102:103]
	;; [unrolled: 1-line block ×3, first 2 shown]
	v_fmac_f64_e32 v[208:209], s[12:13], v[20:21]
	v_fmac_f64_e32 v[36:37], s[8:9], v[22:23]
	v_add_f64 v[24:25], v[24:25], v[26:27]
	v_fmac_f64_e32 v[208:209], s[14:15], v[22:23]
	v_fmac_f64_e32 v[36:37], s[10:11], v[24:25]
	;; [unrolled: 1-line block ×3, first 2 shown]
	v_add_f64 v[24:25], v[100:101], v[114:115]
	v_fmac_f64_e32 v[8:9], -0.5, v[24:25]
	v_fma_f64 v[32:33], s[12:13], v[22:23], v[8:9]
	v_fmac_f64_e32 v[8:9], s[2:3], v[22:23]
	v_fmac_f64_e32 v[32:33], s[8:9], v[20:21]
	;; [unrolled: 1-line block ×3, first 2 shown]
	v_add_f64 v[20:21], v[10:11], v[92:93]
	v_add_f64 v[20:21], v[20:21], v[94:95]
	;; [unrolled: 1-line block ×3, first 2 shown]
	v_fmac_f64_e32 v[226:227], v[30:31], v[46:47]
	v_add_f64 v[24:25], v[102:103], -v[100:101]
	v_add_f64 v[26:27], v[106:107], -v[114:115]
	v_add_f64 v[46:47], v[20:21], v[98:99]
	v_add_f64 v[20:21], v[94:95], v[96:97]
	;; [unrolled: 1-line block ×3, first 2 shown]
	v_fma_f64 v[210:211], -0.5, v[20:21], v[10:11]
	v_add_f64 v[20:21], v[100:101], -v[114:115]
	v_fmac_f64_e32 v[32:33], s[10:11], v[24:25]
	v_fmac_f64_e32 v[8:9], s[10:11], v[24:25]
	v_fma_f64 v[38:39], s[12:13], v[20:21], v[210:211]
	v_add_f64 v[22:23], v[102:103], -v[106:107]
	v_add_f64 v[24:25], v[92:93], -v[94:95]
	;; [unrolled: 1-line block ×3, first 2 shown]
	v_fmac_f64_e32 v[210:211], s[2:3], v[20:21]
	v_fmac_f64_e32 v[38:39], s[14:15], v[22:23]
	v_add_f64 v[24:25], v[24:25], v[26:27]
	v_fmac_f64_e32 v[210:211], s[8:9], v[22:23]
	v_fmac_f64_e32 v[38:39], s[10:11], v[24:25]
	;; [unrolled: 1-line block ×3, first 2 shown]
	v_add_f64 v[24:25], v[92:93], v[98:99]
	v_fmac_f64_e32 v[10:11], -0.5, v[24:25]
	v_fma_f64 v[34:35], s[2:3], v[22:23], v[10:11]
	v_fmac_f64_e32 v[10:11], s[12:13], v[22:23]
	v_fmac_f64_e32 v[34:35], s[14:15], v[20:21]
	v_fmac_f64_e32 v[10:11], s[8:9], v[20:21]
	v_add_f64 v[20:21], v[4:5], v[212:213]
	v_add_f64 v[20:21], v[20:21], v[214:215]
	;; [unrolled: 1-line block ×3, first 2 shown]
	v_add_f64 v[24:25], v[94:95], -v[92:93]
	v_add_f64 v[26:27], v[96:97], -v[98:99]
	v_add_f64 v[92:93], v[20:21], v[224:225]
	v_add_f64 v[20:21], v[214:215], v[218:219]
	;; [unrolled: 1-line block ×3, first 2 shown]
	v_fma_f64 v[20:21], -0.5, v[20:21], v[4:5]
	v_add_f64 v[22:23], v[200:201], -v[220:221]
	v_fmac_f64_e32 v[34:35], s[10:11], v[24:25]
	v_fmac_f64_e32 v[10:11], s[10:11], v[24:25]
	v_fma_f64 v[24:25], s[2:3], v[22:23], v[20:21]
	v_add_f64 v[26:27], v[202:203], -v[216:217]
	v_add_f64 v[28:29], v[212:213], -v[214:215]
	;; [unrolled: 1-line block ×3, first 2 shown]
	v_fmac_f64_e32 v[20:21], s[12:13], v[22:23]
	v_fmac_f64_e32 v[24:25], s[8:9], v[26:27]
	v_add_f64 v[28:29], v[28:29], v[30:31]
	v_fmac_f64_e32 v[20:21], s[14:15], v[26:27]
	v_fmac_f64_e32 v[24:25], s[10:11], v[28:29]
	v_fmac_f64_e32 v[20:21], s[10:11], v[28:29]
	v_add_f64 v[28:29], v[212:213], v[224:225]
	v_fmac_f64_e32 v[4:5], -0.5, v[28:29]
	v_fma_f64 v[28:29], s[12:13], v[26:27], v[4:5]
	v_fmac_f64_e32 v[4:5], s[2:3], v[26:27]
	v_fmac_f64_e32 v[28:29], s[8:9], v[22:23]
	;; [unrolled: 1-line block ×3, first 2 shown]
	v_add_f64 v[22:23], v[6:7], v[200:201]
	v_add_f64 v[22:23], v[22:23], v[202:203]
	v_add_f64 v[30:31], v[214:215], -v[212:213]
	v_add_f64 v[94:95], v[218:219], -v[224:225]
	v_add_f64 v[22:23], v[22:23], v[216:217]
	v_add_f64 v[30:31], v[30:31], v[94:95]
	;; [unrolled: 1-line block ×4, first 2 shown]
	v_fma_f64 v[22:23], -0.5, v[22:23], v[6:7]
	v_add_f64 v[96:97], v[212:213], -v[224:225]
	v_fmac_f64_e32 v[28:29], s[10:11], v[30:31]
	v_fmac_f64_e32 v[4:5], s[10:11], v[30:31]
	v_fma_f64 v[26:27], s[12:13], v[96:97], v[22:23]
	v_add_f64 v[98:99], v[214:215], -v[218:219]
	v_add_f64 v[30:31], v[200:201], -v[202:203]
	;; [unrolled: 1-line block ×3, first 2 shown]
	v_fmac_f64_e32 v[22:23], s[2:3], v[96:97]
	v_fmac_f64_e32 v[26:27], s[14:15], v[98:99]
	v_add_f64 v[30:31], v[30:31], v[100:101]
	v_fmac_f64_e32 v[22:23], s[8:9], v[98:99]
	v_fmac_f64_e32 v[26:27], s[10:11], v[30:31]
	;; [unrolled: 1-line block ×3, first 2 shown]
	v_add_f64 v[30:31], v[200:201], v[220:221]
	v_fmac_f64_e32 v[6:7], -0.5, v[30:31]
	v_fma_f64 v[30:31], s[2:3], v[98:99], v[6:7]
	v_fmac_f64_e32 v[6:7], s[12:13], v[98:99]
	v_fmac_f64_e32 v[30:31], s[14:15], v[96:97]
	;; [unrolled: 1-line block ×3, first 2 shown]
	v_add_f64 v[96:97], v[0:1], v[228:229]
	v_add_f64 v[96:97], v[96:97], v[232:233]
	;; [unrolled: 1-line block ×3, first 2 shown]
	v_add_f64 v[100:101], v[202:203], -v[200:201]
	v_add_f64 v[102:103], v[216:217], -v[220:221]
	v_add_f64 v[196:197], v[96:97], v[238:239]
	v_add_f64 v[96:97], v[232:233], v[236:237]
	;; [unrolled: 1-line block ×3, first 2 shown]
	v_fma_f64 v[188:189], -0.5, v[96:97], v[0:1]
	v_add_f64 v[96:97], v[222:223], -v[234:235]
	v_fmac_f64_e32 v[30:31], s[10:11], v[100:101]
	v_fmac_f64_e32 v[6:7], s[10:11], v[100:101]
	v_fma_f64 v[192:193], s[2:3], v[96:97], v[188:189]
	v_add_f64 v[98:99], v[226:227], -v[230:231]
	v_add_f64 v[100:101], v[228:229], -v[232:233]
	;; [unrolled: 1-line block ×3, first 2 shown]
	v_fmac_f64_e32 v[188:189], s[12:13], v[96:97]
	v_fmac_f64_e32 v[192:193], s[8:9], v[98:99]
	v_add_f64 v[100:101], v[100:101], v[102:103]
	v_fmac_f64_e32 v[188:189], s[14:15], v[98:99]
	v_fmac_f64_e32 v[192:193], s[10:11], v[100:101]
	;; [unrolled: 1-line block ×3, first 2 shown]
	v_add_f64 v[100:101], v[228:229], v[238:239]
	v_fmac_f64_e32 v[0:1], -0.5, v[100:101]
	v_fma_f64 v[200:201], s[12:13], v[98:99], v[0:1]
	v_fmac_f64_e32 v[0:1], s[2:3], v[98:99]
	v_fmac_f64_e32 v[200:201], s[8:9], v[96:97]
	;; [unrolled: 1-line block ×3, first 2 shown]
	v_add_f64 v[96:97], v[2:3], v[222:223]
	v_add_f64 v[96:97], v[96:97], v[226:227]
	v_add_f64 v[96:97], v[96:97], v[230:231]
	v_add_f64 v[100:101], v[232:233], -v[228:229]
	v_add_f64 v[102:103], v[236:237], -v[238:239]
	v_add_f64 v[198:199], v[96:97], v[234:235]
	v_add_f64 v[96:97], v[226:227], v[230:231]
	;; [unrolled: 1-line block ×3, first 2 shown]
	v_fma_f64 v[190:191], -0.5, v[96:97], v[2:3]
	v_add_f64 v[96:97], v[228:229], -v[238:239]
	v_fmac_f64_e32 v[200:201], s[10:11], v[100:101]
	v_fmac_f64_e32 v[0:1], s[10:11], v[100:101]
	v_fma_f64 v[194:195], s[12:13], v[96:97], v[190:191]
	v_add_f64 v[98:99], v[232:233], -v[236:237]
	v_add_f64 v[100:101], v[222:223], -v[226:227]
	;; [unrolled: 1-line block ×3, first 2 shown]
	v_fmac_f64_e32 v[190:191], s[2:3], v[96:97]
	v_fmac_f64_e32 v[194:195], s[14:15], v[98:99]
	v_add_f64 v[100:101], v[100:101], v[102:103]
	v_fmac_f64_e32 v[190:191], s[8:9], v[98:99]
	v_fmac_f64_e32 v[194:195], s[10:11], v[100:101]
	v_fmac_f64_e32 v[190:191], s[10:11], v[100:101]
	v_add_f64 v[100:101], v[222:223], v[234:235]
	v_fmac_f64_e32 v[2:3], -0.5, v[100:101]
	ds_write_b128 v185, v[88:91]
	ds_write_b128 v185, v[80:83] offset:160
	ds_write_b128 v185, v[72:75] offset:320
	;; [unrolled: 1-line block ×19, first 2 shown]
	v_and_b32_e32 v8, 0xff, v124
	v_fma_f64 v[202:203], s[2:3], v[98:99], v[2:3]
	v_add_f64 v[100:101], v[226:227], -v[222:223]
	v_add_f64 v[102:103], v[230:231], -v[234:235]
	v_fmac_f64_e32 v[2:3], s[12:13], v[98:99]
	v_lshl_add_u32 v242, v8, 4, v246
	v_add_f64 v[100:101], v[100:101], v[102:103]
	v_fmac_f64_e32 v[2:3], s[8:9], v[96:97]
	ds_write_b128 v242, v[92:95] offset:1600
	ds_write_b128 v242, v[24:27] offset:1760
	ds_write_b128 v242, v[28:31] offset:1920
	ds_write_b128 v242, v[4:7] offset:2080
	ds_write_b128 v242, v[20:23] offset:2240
	v_and_b32_e32 v4, 0xff, v125
	v_fmac_f64_e32 v[202:203], s[14:15], v[96:97]
	v_fmac_f64_e32 v[2:3], s[10:11], v[100:101]
	v_lshl_add_u32 v241, v4, 4, v246
	v_fmac_f64_e32 v[202:203], s[10:11], v[100:101]
	ds_write_b128 v241, v[196:199] offset:1600
	ds_write_b128 v241, v[192:195] offset:1760
	ds_write_b128 v241, v[200:203] offset:1920
	ds_write_b128 v241, v[0:3] offset:2080
	ds_write_b128 v241, v[188:191] offset:2240
	s_waitcnt lgkmcnt(0)
	; wave barrier
	s_waitcnt lgkmcnt(0)
	ds_read_b128 v[36:39], v185
	ds_read_b128 v[116:119], v185 offset:800
	ds_read_b128 v[112:115], v185 offset:1600
	;; [unrolled: 1-line block ×29, first 2 shown]
	global_load_dwordx4 v[124:127], v243, s[6:7] offset:656
	global_load_dwordx4 v[152:155], v243, s[6:7] offset:640
	s_waitcnt vmcnt(1)
	v_accvgpr_write_b32 a163, v127
	s_waitcnt vmcnt(0) lgkmcnt(14)
	v_mul_f64 v[120:121], v[118:119], v[154:155]
	v_fma_f64 v[120:121], v[116:117], v[152:153], -v[120:121]
	v_mul_f64 v[122:123], v[116:117], v[154:155]
	v_accvgpr_write_b32 a167, v155
	v_mul_f64 v[116:117], v[114:115], v[126:127]
	v_fmac_f64_e32 v[122:123], v[118:119], v[152:153]
	v_accvgpr_write_b32 a166, v154
	v_accvgpr_write_b32 a165, v153
	;; [unrolled: 1-line block ×3, first 2 shown]
	v_fma_f64 v[152:153], v[112:113], v[124:125], -v[116:117]
	v_mul_f64 v[112:113], v[112:113], v[126:127]
	v_fmac_f64_e32 v[112:113], v[114:115], v[124:125]
	v_lshlrev_b32_e32 v114, 5, v247
	v_accvgpr_write_b32 a162, v126
	v_accvgpr_write_b32 a161, v125
	;; [unrolled: 1-line block ×3, first 2 shown]
	global_load_dwordx4 v[116:119], v114, s[6:7] offset:656
	global_load_dwordx4 v[124:127], v114, s[6:7] offset:640
	s_waitcnt vmcnt(1)
	v_mul_f64 v[168:169], v[104:105], v[118:119]
	s_waitcnt vmcnt(0)
	v_mul_f64 v[114:115], v[110:111], v[126:127]
	v_fma_f64 v[154:155], v[108:109], v[124:125], -v[114:115]
	v_mul_f64 v[164:165], v[108:109], v[126:127]
	v_mul_f64 v[108:109], v[106:107], v[118:119]
	v_fma_f64 v[166:167], v[104:105], v[116:117], -v[108:109]
	v_lshlrev_b32_e32 v104, 5, v245
	global_load_dwordx4 v[200:203], v104, s[6:7] offset:656
	global_load_dwordx4 v[194:197], v104, s[6:7] offset:640
	v_accvgpr_write_b32 a175, v127
	v_fmac_f64_e32 v[164:165], v[110:111], v[124:125]
	v_accvgpr_write_b32 a174, v126
	v_accvgpr_write_b32 a173, v125
	;; [unrolled: 1-line block ×4, first 2 shown]
	v_fmac_f64_e32 v[168:169], v[106:107], v[116:117]
	v_accvgpr_write_b32 a170, v118
	v_accvgpr_write_b32 a169, v117
	;; [unrolled: 1-line block ×3, first 2 shown]
	s_waitcnt vmcnt(1)
	v_mul_f64 v[172:173], v[96:97], v[202:203]
	s_waitcnt vmcnt(0)
	v_mul_f64 v[104:105], v[102:103], v[196:197]
	v_fma_f64 v[124:125], v[100:101], v[194:195], -v[104:105]
	v_mul_f64 v[126:127], v[100:101], v[196:197]
	v_mul_f64 v[100:101], v[98:99], v[202:203]
	v_fma_f64 v[170:171], v[96:97], v[200:201], -v[100:101]
	v_add_u32_e32 v96, 0x1e0, v243
	global_load_dwordx4 v[208:211], v96, s[6:7] offset:656
	global_load_dwordx4 v[212:215], v96, s[6:7] offset:640
	v_fmac_f64_e32 v[126:127], v[102:103], v[194:195]
	v_fmac_f64_e32 v[172:173], v[98:99], v[200:201]
	s_waitcnt vmcnt(0)
	v_mul_f64 v[96:97], v[94:95], v[214:215]
	v_fma_f64 v[174:175], v[92:93], v[212:213], -v[96:97]
	v_mul_f64 v[176:177], v[92:93], v[214:215]
	v_mul_f64 v[92:93], v[90:91], v[210:211]
	v_fma_f64 v[178:179], v[88:89], v[208:209], -v[92:93]
	v_mul_f64 v[88:89], v[88:89], v[210:211]
	v_fmac_f64_e32 v[88:89], v[90:91], v[208:209]
	v_lshlrev_b32_e32 v90, 5, v244
	global_load_dwordx4 v[216:219], v90, s[6:7] offset:656
	global_load_dwordx4 v[220:223], v90, s[6:7] offset:640
	v_fmac_f64_e32 v[176:177], v[94:95], v[212:213]
	s_waitcnt vmcnt(0)
	v_mul_f64 v[90:91], v[86:87], v[222:223]
	v_fma_f64 v[90:91], v[84:85], v[220:221], -v[90:91]
	v_mul_f64 v[84:85], v[84:85], v[222:223]
	v_fmac_f64_e32 v[84:85], v[86:87], v[220:221]
	v_mul_f64 v[86:87], v[82:83], v[218:219]
	v_fma_f64 v[86:87], v[80:81], v[216:217], -v[86:87]
	v_mul_f64 v[80:81], v[80:81], v[218:219]
	v_fmac_f64_e32 v[80:81], v[82:83], v[216:217]
	v_lshlrev_b32_e32 v82, 5, v186
	global_load_dwordx4 v[224:227], v82, s[6:7] offset:656
	global_load_dwordx4 v[228:231], v82, s[6:7] offset:640
	s_waitcnt vmcnt(0) lgkmcnt(13)
	v_mul_f64 v[82:83], v[78:79], v[230:231]
	v_fma_f64 v[82:83], v[76:77], v[228:229], -v[82:83]
	v_mul_f64 v[76:77], v[76:77], v[230:231]
	v_fmac_f64_e32 v[76:77], v[78:79], v[228:229]
	s_waitcnt lgkmcnt(12)
	v_mul_f64 v[78:79], v[74:75], v[226:227]
	v_fma_f64 v[78:79], v[72:73], v[224:225], -v[78:79]
	v_mul_f64 v[72:73], v[72:73], v[226:227]
	v_fmac_f64_e32 v[72:73], v[74:75], v[224:225]
	v_add_u32_e32 v74, 0x3c0, v243
	global_load_dwordx4 v[232:235], v74, s[6:7] offset:656
	global_load_dwordx4 v[236:239], v74, s[6:7] offset:640
	s_waitcnt vmcnt(0) lgkmcnt(10)
	v_mul_f64 v[74:75], v[70:71], v[238:239]
	v_fma_f64 v[74:75], v[68:69], v[236:237], -v[74:75]
	v_mul_f64 v[68:69], v[68:69], v[238:239]
	v_fmac_f64_e32 v[68:69], v[70:71], v[236:237]
	s_waitcnt lgkmcnt(9)
	v_mul_f64 v[70:71], v[66:67], v[234:235]
	v_fma_f64 v[70:71], v[64:65], v[232:233], -v[70:71]
	v_mul_f64 v[64:65], v[64:65], v[234:235]
	v_fmac_f64_e32 v[64:65], v[66:67], v[232:233]
	v_add_u32_e32 v66, 0x460, v243
	global_load_dwordx4 v[190:193], v66, s[6:7] offset:656
	global_load_dwordx4 v[244:247], v66, s[6:7] offset:640
	s_waitcnt vmcnt(0) lgkmcnt(7)
	v_mul_f64 v[66:67], v[62:63], v[246:247]
	v_fma_f64 v[198:199], v[60:61], v[244:245], -v[66:67]
	v_mul_f64 v[60:61], v[60:61], v[246:247]
	v_fmac_f64_e32 v[60:61], v[62:63], v[244:245]
	s_waitcnt lgkmcnt(6)
	v_mul_f64 v[62:63], v[58:59], v[192:193]
	v_fma_f64 v[62:63], v[56:57], v[190:191], -v[62:63]
	v_mul_f64 v[56:57], v[56:57], v[192:193]
	v_fmac_f64_e32 v[56:57], v[58:59], v[190:191]
	v_lshlrev_b32_e32 v58, 5, v187
	global_load_dwordx4 v[248:251], v58, s[6:7] offset:656
	global_load_dwordx4 v[252:255], v58, s[6:7] offset:640
	s_waitcnt vmcnt(0) lgkmcnt(4)
	v_mul_f64 v[58:59], v[54:55], v[254:255]
	v_fma_f64 v[58:59], v[52:53], v[252:253], -v[58:59]
	v_mul_f64 v[52:53], v[52:53], v[254:255]
	v_fmac_f64_e32 v[52:53], v[54:55], v[252:253]
	s_waitcnt lgkmcnt(3)
	v_mul_f64 v[54:55], v[50:51], v[250:251]
	v_fma_f64 v[54:55], v[48:49], v[248:249], -v[54:55]
	v_mul_f64 v[48:49], v[48:49], v[250:251]
	v_fmac_f64_e32 v[48:49], v[50:51], v[248:249]
	v_add_u32_e32 v50, 0x5a0, v243
	global_load_dwordx4 v[186:189], v50, s[6:7] offset:656
	global_load_dwordx4 v[180:183], v50, s[6:7] offset:640
	s_mov_b32 s6, 0xe8584caa
	s_mov_b32 s7, 0x3febb67a
	;; [unrolled: 1-line block ×3, first 2 shown]
	s_waitcnt vmcnt(0) lgkmcnt(1)
	v_mul_f64 v[50:51], v[46:47], v[182:183]
	v_fma_f64 v[50:51], v[44:45], v[180:181], -v[50:51]
	v_mul_f64 v[44:45], v[44:45], v[182:183]
	v_fmac_f64_e32 v[44:45], v[46:47], v[180:181]
	s_waitcnt lgkmcnt(0)
	v_mul_f64 v[46:47], v[42:43], v[188:189]
	v_fma_f64 v[46:47], v[40:41], v[186:187], -v[46:47]
	v_mul_f64 v[40:41], v[40:41], v[188:189]
	v_fmac_f64_e32 v[40:41], v[42:43], v[186:187]
	v_add_f64 v[42:43], v[36:37], v[120:121]
	v_add_f64 v[116:117], v[42:43], v[152:153]
	v_add_f64 v[42:43], v[120:121], v[152:153]
	v_fmac_f64_e32 v[36:37], -0.5, v[42:43]
	v_add_f64 v[42:43], v[122:123], -v[112:113]
	v_fma_f64 v[108:109], s[6:7], v[42:43], v[36:37]
	v_fmac_f64_e32 v[36:37], s[24:25], v[42:43]
	v_add_f64 v[42:43], v[38:39], v[122:123]
	v_add_f64 v[118:119], v[42:43], v[112:113]
	v_add_f64 v[42:43], v[122:123], v[112:113]
	v_fmac_f64_e32 v[38:39], -0.5, v[42:43]
	v_add_f64 v[42:43], v[120:121], -v[152:153]
	v_fma_f64 v[110:111], s[24:25], v[42:43], v[38:39]
	;; [unrolled: 7-line block ×20, first 2 shown]
	v_fmac_f64_e32 v[2:3], s[6:7], v[40:41]
	ds_write_b128 v185, v[116:119]
	ds_write_b128 v185, v[108:111] offset:800
	ds_write_b128 v185, v[36:39] offset:1600
	;; [unrolled: 1-line block ×29, first 2 shown]
	s_waitcnt lgkmcnt(0)
	; wave barrier
	s_waitcnt lgkmcnt(0)
	global_load_dwordx4 v[4:7], v138, s[4:5] offset:2400
	ds_read_b128 v[0:3], v185
	s_waitcnt vmcnt(0) lgkmcnt(0)
	v_mul_f64 v[8:9], v[2:3], v[6:7]
	v_mul_f64 v[10:11], v[0:1], v[6:7]
	v_fma_f64 v[8:9], v[0:1], v[4:5], -v[8:9]
	v_fmac_f64_e32 v[10:11], v[2:3], v[4:5]
	global_load_dwordx4 v[4:7], v138, s[16:17] offset:240
	ds_read_b128 v[0:3], v185 offset:240
	ds_write_b128 v185, v[8:11]
	s_waitcnt vmcnt(0) lgkmcnt(1)
	v_mul_f64 v[8:9], v[2:3], v[6:7]
	v_mul_f64 v[10:11], v[0:1], v[6:7]
	v_fma_f64 v[8:9], v[0:1], v[4:5], -v[8:9]
	v_fmac_f64_e32 v[10:11], v[2:3], v[4:5]
	global_load_dwordx4 v[4:7], v138, s[16:17] offset:480
	ds_read_b128 v[0:3], v185 offset:480
	ds_write_b128 v185, v[8:11] offset:240
	s_waitcnt vmcnt(0) lgkmcnt(1)
	v_mul_f64 v[8:9], v[2:3], v[6:7]
	v_mul_f64 v[10:11], v[0:1], v[6:7]
	v_fma_f64 v[8:9], v[0:1], v[4:5], -v[8:9]
	v_fmac_f64_e32 v[10:11], v[2:3], v[4:5]
	global_load_dwordx4 v[4:7], v138, s[16:17] offset:720
	ds_read_b128 v[0:3], v185 offset:720
	ds_write_b128 v185, v[8:11] offset:480
	;; [unrolled: 8-line block ×28, first 2 shown]
	s_waitcnt vmcnt(0) lgkmcnt(1)
	v_mul_f64 v[8:9], v[2:3], v[6:7]
	v_mul_f64 v[10:11], v[0:1], v[6:7]
	v_fma_f64 v[8:9], v[0:1], v[4:5], -v[8:9]
	v_fmac_f64_e32 v[10:11], v[2:3], v[4:5]
	ds_write_b128 v185, v[8:11] offset:2320
	s_waitcnt lgkmcnt(0)
	; wave barrier
	s_waitcnt lgkmcnt(0)
	ds_read_b128 v[64:67], v185
	ds_read_b128 v[84:87], v185 offset:240
	ds_read_b128 v[22:25], v185 offset:480
	;; [unrolled: 1-line block ×29, first 2 shown]
	s_waitcnt lgkmcnt(14)
	v_add_f64 v[16:17], v[64:65], v[22:23]
	v_add_f64 v[16:17], v[16:17], v[152:153]
	;; [unrolled: 1-line block ×5, first 2 shown]
	v_fma_f64 v[16:17], -0.5, v[16:17], v[64:65]
	v_add_f64 v[46:47], v[24:25], -v[170:171]
	v_fma_f64 v[116:117], s[12:13], v[46:47], v[16:17]
	v_add_f64 v[112:113], v[154:155], -v[166:167]
	v_add_f64 v[114:115], v[22:23], -v[152:153]
	;; [unrolled: 1-line block ×3, first 2 shown]
	v_fmac_f64_e32 v[16:17], s[2:3], v[46:47]
	v_fmac_f64_e32 v[116:117], s[14:15], v[112:113]
	v_add_f64 v[114:115], v[114:115], v[118:119]
	v_fmac_f64_e32 v[16:17], s[8:9], v[112:113]
	v_fmac_f64_e32 v[116:117], s[10:11], v[114:115]
	;; [unrolled: 1-line block ×3, first 2 shown]
	v_add_f64 v[114:115], v[22:23], v[168:169]
	v_fmac_f64_e32 v[64:65], -0.5, v[114:115]
	v_fma_f64 v[114:115], s[2:3], v[112:113], v[64:65]
	v_fmac_f64_e32 v[64:65], s[12:13], v[112:113]
	v_fmac_f64_e32 v[114:115], s[14:15], v[46:47]
	;; [unrolled: 1-line block ×3, first 2 shown]
	v_add_f64 v[46:47], v[66:67], v[24:25]
	v_add_f64 v[46:47], v[46:47], v[154:155]
	;; [unrolled: 1-line block ×3, first 2 shown]
	v_add_f64 v[118:119], v[152:153], -v[22:23]
	v_add_f64 v[122:123], v[164:165], -v[168:169]
	v_add_f64 v[124:125], v[46:47], v[170:171]
	v_add_f64 v[46:47], v[154:155], v[166:167]
	;; [unrolled: 1-line block ×3, first 2 shown]
	v_fma_f64 v[46:47], -0.5, v[46:47], v[66:67]
	v_add_f64 v[112:113], v[22:23], -v[168:169]
	v_fmac_f64_e32 v[114:115], s[10:11], v[118:119]
	v_fmac_f64_e32 v[64:65], s[10:11], v[118:119]
	v_fma_f64 v[118:119], s[2:3], v[112:113], v[46:47]
	v_add_f64 v[122:123], v[152:153], -v[164:165]
	v_add_f64 v[22:23], v[24:25], -v[154:155]
	;; [unrolled: 1-line block ×3, first 2 shown]
	v_fmac_f64_e32 v[46:47], s[12:13], v[112:113]
	v_fmac_f64_e32 v[118:119], s[8:9], v[122:123]
	v_add_f64 v[22:23], v[22:23], v[126:127]
	v_fmac_f64_e32 v[46:47], s[14:15], v[122:123]
	v_fmac_f64_e32 v[118:119], s[10:11], v[22:23]
	;; [unrolled: 1-line block ×3, first 2 shown]
	v_add_f64 v[22:23], v[24:25], v[170:171]
	v_fmac_f64_e32 v[66:67], -0.5, v[22:23]
	v_fma_f64 v[22:23], s[12:13], v[122:123], v[66:67]
	v_add_f64 v[24:25], v[154:155], -v[24:25]
	v_add_f64 v[126:127], v[166:167], -v[170:171]
	v_fmac_f64_e32 v[66:67], s[2:3], v[122:123]
	v_fmac_f64_e32 v[22:23], s[8:9], v[112:113]
	v_add_f64 v[24:25], v[24:25], v[126:127]
	v_fmac_f64_e32 v[66:67], s[14:15], v[112:113]
	v_fmac_f64_e32 v[22:23], s[10:11], v[24:25]
	;; [unrolled: 1-line block ×3, first 2 shown]
	v_add_f64 v[24:25], v[84:85], v[88:89]
	v_add_f64 v[24:25], v[24:25], v[92:93]
	;; [unrolled: 1-line block ×5, first 2 shown]
	v_fma_f64 v[122:123], -0.5, v[24:25], v[84:85]
	v_add_f64 v[24:25], v[90:91], -v[102:103]
	v_fma_f64 v[154:155], s[12:13], v[24:25], v[122:123]
	v_add_f64 v[126:127], v[94:95], -v[98:99]
	v_add_f64 v[152:153], v[88:89], -v[92:93]
	;; [unrolled: 1-line block ×3, first 2 shown]
	v_fmac_f64_e32 v[122:123], s[2:3], v[24:25]
	v_fmac_f64_e32 v[154:155], s[14:15], v[126:127]
	v_add_f64 v[152:153], v[152:153], v[164:165]
	v_fmac_f64_e32 v[122:123], s[8:9], v[126:127]
	v_fmac_f64_e32 v[154:155], s[10:11], v[152:153]
	;; [unrolled: 1-line block ×3, first 2 shown]
	v_add_f64 v[152:153], v[88:89], v[100:101]
	v_fmac_f64_e32 v[84:85], -0.5, v[152:153]
	v_fma_f64 v[166:167], s[2:3], v[126:127], v[84:85]
	v_add_f64 v[152:153], v[92:93], -v[88:89]
	v_add_f64 v[164:165], v[96:97], -v[100:101]
	v_fmac_f64_e32 v[84:85], s[12:13], v[126:127]
	v_add_f64 v[126:127], v[94:95], v[98:99]
	v_fmac_f64_e32 v[166:167], s[14:15], v[24:25]
	v_add_f64 v[152:153], v[152:153], v[164:165]
	v_fmac_f64_e32 v[84:85], s[8:9], v[24:25]
	v_fma_f64 v[126:127], -0.5, v[126:127], v[86:87]
	v_add_f64 v[88:89], v[88:89], -v[100:101]
	v_fmac_f64_e32 v[166:167], s[10:11], v[152:153]
	v_fmac_f64_e32 v[84:85], s[10:11], v[152:153]
	v_fma_f64 v[100:101], s[2:3], v[88:89], v[126:127]
	v_add_f64 v[92:93], v[92:93], -v[96:97]
	v_add_f64 v[96:97], v[90:91], -v[94:95]
	;; [unrolled: 1-line block ×3, first 2 shown]
	v_fmac_f64_e32 v[126:127], s[12:13], v[88:89]
	v_fmac_f64_e32 v[100:101], s[8:9], v[92:93]
	v_add_f64 v[96:97], v[96:97], v[152:153]
	v_fmac_f64_e32 v[126:127], s[14:15], v[92:93]
	v_fmac_f64_e32 v[100:101], s[10:11], v[96:97]
	;; [unrolled: 1-line block ×3, first 2 shown]
	v_add_f64 v[96:97], v[90:91], v[102:103]
	v_add_f64 v[24:25], v[86:87], v[90:91]
	v_fmac_f64_e32 v[86:87], -0.5, v[96:97]
	v_add_f64 v[24:25], v[24:25], v[94:95]
	v_fma_f64 v[96:97], s[12:13], v[92:93], v[86:87]
	v_add_f64 v[90:91], v[94:95], -v[90:91]
	v_add_f64 v[94:95], v[98:99], -v[102:103]
	v_fmac_f64_e32 v[86:87], s[2:3], v[92:93]
	v_add_f64 v[24:25], v[24:25], v[98:99]
	v_fmac_f64_e32 v[96:97], s[8:9], v[88:89]
	v_add_f64 v[90:91], v[90:91], v[94:95]
	v_fmac_f64_e32 v[86:87], s[14:15], v[88:89]
	v_mul_f64 v[88:89], v[100:101], s[14:15]
	v_mul_f64 v[98:99], v[126:127], s[14:15]
	v_fmac_f64_e32 v[96:97], s[10:11], v[90:91]
	v_fmac_f64_e32 v[88:89], s[22:23], v[154:155]
	;; [unrolled: 1-line block ×4, first 2 shown]
	v_add_f64 v[172:173], v[116:117], v[88:89]
	v_mul_f64 v[90:91], v[96:97], s[12:13]
	v_add_f64 v[164:165], v[16:17], v[98:99]
	v_mul_f64 v[198:199], v[96:97], s[10:11]
	v_add_f64 v[96:97], v[116:117], -v[88:89]
	v_add_f64 v[88:89], v[16:17], -v[98:99]
	v_add_f64 v[16:17], v[4:5], v[68:69]
	v_mul_f64 v[126:127], v[126:127], s[18:19]
	v_add_f64 v[16:17], v[16:17], v[72:73]
	v_add_f64 v[24:25], v[24:25], v[102:103]
	v_fmac_f64_e32 v[90:91], s[10:11], v[166:167]
	v_mul_f64 v[102:103], v[154:155], s[8:9]
	v_fmac_f64_e32 v[126:127], s[8:9], v[122:123]
	s_waitcnt lgkmcnt(13)
	v_add_f64 v[16:17], v[16:17], v[76:77]
	v_add_f64 v[176:177], v[114:115], v[90:91]
	v_mul_f64 v[94:95], v[86:87], s[12:13]
	v_fmac_f64_e32 v[102:103], s[22:23], v[100:101]
	v_fmac_f64_e32 v[198:199], s[2:3], v[166:167]
	v_mul_f64 v[86:87], v[86:87], s[20:21]
	v_add_f64 v[166:167], v[46:47], v[126:127]
	v_add_f64 v[100:101], v[114:115], -v[90:91]
	v_add_f64 v[90:91], v[46:47], -v[126:127]
	s_waitcnt lgkmcnt(11)
	v_add_f64 v[46:47], v[16:17], v[18:19]
	v_add_f64 v[16:17], v[72:73], v[76:77]
	v_fmac_f64_e32 v[94:95], s[20:21], v[84:85]
	v_add_f64 v[174:175], v[118:119], v[102:103]
	v_add_f64 v[178:179], v[22:23], v[198:199]
	v_fmac_f64_e32 v[86:87], s[2:3], v[84:85]
	v_add_f64 v[98:99], v[118:119], -v[102:103]
	v_add_f64 v[102:103], v[22:23], -v[198:199]
	v_fma_f64 v[16:17], -0.5, v[16:17], v[4:5]
	v_add_f64 v[22:23], v[70:71], -v[20:21]
	v_add_f64 v[168:169], v[120:121], v[112:113]
	v_add_f64 v[152:153], v[64:65], v[94:95]
	;; [unrolled: 1-line block ×4, first 2 shown]
	v_add_f64 v[92:93], v[120:121], -v[112:113]
	v_add_f64 v[84:85], v[64:65], -v[94:95]
	;; [unrolled: 1-line block ×4, first 2 shown]
	v_fma_f64 v[112:113], s[12:13], v[22:23], v[16:17]
	v_add_f64 v[24:25], v[74:75], -v[78:79]
	v_add_f64 v[64:65], v[68:69], -v[72:73]
	;; [unrolled: 1-line block ×3, first 2 shown]
	v_fmac_f64_e32 v[16:17], s[2:3], v[22:23]
	v_fmac_f64_e32 v[112:113], s[14:15], v[24:25]
	v_add_f64 v[64:65], v[64:65], v[66:67]
	v_fmac_f64_e32 v[16:17], s[8:9], v[24:25]
	v_fmac_f64_e32 v[112:113], s[10:11], v[64:65]
	;; [unrolled: 1-line block ×3, first 2 shown]
	v_add_f64 v[64:65], v[68:69], v[18:19]
	v_fmac_f64_e32 v[4:5], -0.5, v[64:65]
	v_fma_f64 v[116:117], s[2:3], v[24:25], v[4:5]
	v_fmac_f64_e32 v[4:5], s[12:13], v[24:25]
	v_fmac_f64_e32 v[116:117], s[14:15], v[22:23]
	;; [unrolled: 1-line block ×3, first 2 shown]
	v_add_f64 v[22:23], v[6:7], v[70:71]
	v_add_f64 v[22:23], v[22:23], v[74:75]
	v_add_f64 v[64:65], v[72:73], -v[68:69]
	v_add_f64 v[66:67], v[76:77], -v[18:19]
	v_add_f64 v[22:23], v[22:23], v[78:79]
	v_add_f64 v[64:65], v[64:65], v[66:67]
	;; [unrolled: 1-line block ×4, first 2 shown]
	v_fmac_f64_e32 v[116:117], s[10:11], v[64:65]
	v_fmac_f64_e32 v[4:5], s[10:11], v[64:65]
	v_fma_f64 v[22:23], -0.5, v[22:23], v[6:7]
	v_add_f64 v[64:65], v[68:69], -v[18:19]
	v_fma_f64 v[18:19], s[2:3], v[64:65], v[22:23]
	v_add_f64 v[66:67], v[72:73], -v[76:77]
	v_add_f64 v[68:69], v[70:71], -v[74:75]
	;; [unrolled: 1-line block ×3, first 2 shown]
	v_fmac_f64_e32 v[22:23], s[12:13], v[64:65]
	v_fmac_f64_e32 v[18:19], s[8:9], v[66:67]
	v_add_f64 v[68:69], v[68:69], v[72:73]
	v_fmac_f64_e32 v[22:23], s[14:15], v[66:67]
	v_fmac_f64_e32 v[18:19], s[10:11], v[68:69]
	;; [unrolled: 1-line block ×3, first 2 shown]
	v_add_f64 v[68:69], v[70:71], v[20:21]
	v_fmac_f64_e32 v[6:7], -0.5, v[68:69]
	v_fma_f64 v[114:115], s[12:13], v[66:67], v[6:7]
	v_fmac_f64_e32 v[6:7], s[2:3], v[66:67]
	v_fmac_f64_e32 v[114:115], s[8:9], v[64:65]
	;; [unrolled: 1-line block ×3, first 2 shown]
	v_add_f64 v[64:65], v[52:53], v[56:57]
	v_add_f64 v[68:69], v[74:75], -v[70:71]
	v_add_f64 v[20:21], v[78:79], -v[20:21]
	v_fma_f64 v[66:67], -0.5, v[64:65], v[0:1]
	s_waitcnt lgkmcnt(10)
	v_add_f64 v[64:65], v[50:51], -v[62:63]
	v_add_f64 v[20:21], v[68:69], v[20:21]
	v_fma_f64 v[74:75], s[12:13], v[64:65], v[66:67]
	v_add_f64 v[68:69], v[54:55], -v[58:59]
	v_add_f64 v[70:71], v[48:49], -v[52:53]
	;; [unrolled: 1-line block ×3, first 2 shown]
	v_fmac_f64_e32 v[66:67], s[2:3], v[64:65]
	v_fmac_f64_e32 v[74:75], s[14:15], v[68:69]
	v_add_f64 v[70:71], v[70:71], v[72:73]
	v_fmac_f64_e32 v[66:67], s[8:9], v[68:69]
	v_fmac_f64_e32 v[74:75], s[10:11], v[70:71]
	;; [unrolled: 1-line block ×3, first 2 shown]
	v_add_f64 v[70:71], v[48:49], v[60:61]
	v_fmac_f64_e32 v[114:115], s[10:11], v[20:21]
	v_fmac_f64_e32 v[6:7], s[10:11], v[20:21]
	v_add_f64 v[20:21], v[0:1], v[48:49]
	v_fmac_f64_e32 v[0:1], -0.5, v[70:71]
	v_fma_f64 v[78:79], s[2:3], v[68:69], v[0:1]
	v_fmac_f64_e32 v[0:1], s[12:13], v[68:69]
	v_fmac_f64_e32 v[78:79], s[14:15], v[64:65]
	;; [unrolled: 1-line block ×3, first 2 shown]
	v_add_f64 v[64:65], v[2:3], v[50:51]
	v_add_f64 v[64:65], v[64:65], v[54:55]
	;; [unrolled: 1-line block ×7, first 2 shown]
	v_add_f64 v[70:71], v[52:53], -v[48:49]
	v_fma_f64 v[120:121], -0.5, v[64:65], v[2:3]
	v_add_f64 v[48:49], v[48:49], -v[60:61]
	v_add_f64 v[20:21], v[20:21], v[60:61]
	v_add_f64 v[72:73], v[56:57], -v[60:61]
	v_fma_f64 v[122:123], s[2:3], v[48:49], v[120:121]
	v_add_f64 v[52:53], v[52:53], -v[56:57]
	v_add_f64 v[56:57], v[50:51], -v[54:55]
	;; [unrolled: 1-line block ×3, first 2 shown]
	v_fmac_f64_e32 v[120:121], s[12:13], v[48:49]
	v_fmac_f64_e32 v[122:123], s[8:9], v[52:53]
	v_add_f64 v[56:57], v[56:57], v[60:61]
	v_fmac_f64_e32 v[120:121], s[14:15], v[52:53]
	v_fmac_f64_e32 v[122:123], s[10:11], v[56:57]
	;; [unrolled: 1-line block ×3, first 2 shown]
	v_add_f64 v[56:57], v[50:51], v[62:63]
	v_fmac_f64_e32 v[2:3], -0.5, v[56:57]
	v_fma_f64 v[56:57], s[12:13], v[52:53], v[2:3]
	v_add_f64 v[50:51], v[54:55], -v[50:51]
	v_add_f64 v[54:55], v[58:59], -v[62:63]
	v_fmac_f64_e32 v[2:3], s[2:3], v[52:53]
	v_add_f64 v[50:51], v[50:51], v[54:55]
	v_fmac_f64_e32 v[2:3], s[14:15], v[48:49]
	v_add_f64 v[70:71], v[70:71], v[72:73]
	v_fmac_f64_e32 v[2:3], s[10:11], v[50:51]
	v_fmac_f64_e32 v[0:1], s[10:11], v[70:71]
	v_mul_f64 v[58:59], v[2:3], s[12:13]
	v_mul_f64 v[124:125], v[120:121], s[14:15]
	v_fmac_f64_e32 v[56:57], s[8:9], v[48:49]
	v_fmac_f64_e32 v[58:59], s[20:21], v[0:1]
	;; [unrolled: 1-line block ×3, first 2 shown]
	v_mul_f64 v[2:3], v[2:3], s[20:21]
	v_fmac_f64_e32 v[56:57], s[10:11], v[50:51]
	v_add_f64 v[60:61], v[4:5], v[58:59]
	v_add_f64 v[64:65], v[16:17], v[124:125]
	v_fmac_f64_e32 v[2:3], s[2:3], v[0:1]
	v_add_f64 v[0:1], v[4:5], -v[58:59]
	v_add_f64 v[4:5], v[16:17], -v[124:125]
	s_waitcnt lgkmcnt(7)
	v_add_f64 v[16:17], v[12:13], v[34:35]
	v_fmac_f64_e32 v[78:79], s[10:11], v[70:71]
	v_mul_f64 v[54:55], v[56:57], s[12:13]
	s_waitcnt lgkmcnt(5)
	v_add_f64 v[16:17], v[16:17], v[30:31]
	v_fmac_f64_e32 v[54:55], s[10:11], v[78:79]
	v_mul_f64 v[126:127], v[74:75], s[8:9]
	s_waitcnt lgkmcnt(3)
	v_add_f64 v[16:17], v[16:17], v[26:27]
	v_mul_f64 v[50:51], v[122:123], s[14:15]
	v_add_f64 v[76:77], v[116:117], v[54:55]
	v_fmac_f64_e32 v[126:127], s[22:23], v[122:123]
	v_mul_f64 v[122:123], v[56:57], s[10:11]
	v_mul_f64 v[120:121], v[120:121], s[18:19]
	v_add_f64 v[56:57], v[116:117], -v[54:55]
	s_waitcnt lgkmcnt(1)
	v_add_f64 v[116:117], v[16:17], v[108:109]
	v_add_f64 v[16:17], v[30:31], v[26:27]
	;; [unrolled: 1-line block ×3, first 2 shown]
	v_fmac_f64_e32 v[50:51], s[22:23], v[74:75]
	v_fmac_f64_e32 v[120:121], s[8:9], v[66:67]
	v_add_f64 v[48:49], v[46:47], -v[20:21]
	v_fma_f64 v[46:47], -0.5, v[16:17], v[12:13]
	v_add_f64 v[16:17], v[36:37], -v[110:111]
	v_add_f64 v[72:73], v[112:113], v[50:51]
	v_add_f64 v[70:71], v[24:25], v[118:119]
	;; [unrolled: 1-line block ×5, first 2 shown]
	v_add_f64 v[52:53], v[112:113], -v[50:51]
	v_add_f64 v[50:51], v[24:25], -v[118:119]
	;; [unrolled: 1-line block ×5, first 2 shown]
	v_fma_f64 v[118:119], s[12:13], v[16:17], v[46:47]
	v_add_f64 v[18:19], v[32:33], -v[28:29]
	v_add_f64 v[20:21], v[34:35], -v[30:31]
	;; [unrolled: 1-line block ×3, first 2 shown]
	v_fmac_f64_e32 v[46:47], s[2:3], v[16:17]
	v_fmac_f64_e32 v[118:119], s[14:15], v[18:19]
	v_add_f64 v[20:21], v[20:21], v[22:23]
	v_fmac_f64_e32 v[46:47], s[8:9], v[18:19]
	v_fmac_f64_e32 v[118:119], s[10:11], v[20:21]
	;; [unrolled: 1-line block ×3, first 2 shown]
	v_add_f64 v[20:21], v[34:35], v[108:109]
	v_fmac_f64_e32 v[122:123], s[2:3], v[78:79]
	v_fmac_f64_e32 v[12:13], -0.5, v[20:21]
	v_add_f64 v[78:79], v[114:115], v[122:123]
	v_add_f64 v[58:59], v[114:115], -v[122:123]
	v_fma_f64 v[122:123], s[2:3], v[18:19], v[12:13]
	v_fmac_f64_e32 v[12:13], s[12:13], v[18:19]
	v_fmac_f64_e32 v[122:123], s[14:15], v[16:17]
	;; [unrolled: 1-line block ×3, first 2 shown]
	v_add_f64 v[16:17], v[14:15], v[36:37]
	v_add_f64 v[16:17], v[16:17], v[32:33]
	;; [unrolled: 1-line block ×3, first 2 shown]
	v_add_f64 v[20:21], v[30:31], -v[34:35]
	v_add_f64 v[22:23], v[26:27], -v[108:109]
	v_add_f64 v[114:115], v[16:17], v[110:111]
	v_add_f64 v[16:17], v[32:33], v[28:29]
	v_add_f64 v[20:21], v[20:21], v[22:23]
	v_fma_f64 v[112:113], -0.5, v[16:17], v[14:15]
	v_add_f64 v[16:17], v[34:35], -v[108:109]
	v_fmac_f64_e32 v[122:123], s[10:11], v[20:21]
	v_fmac_f64_e32 v[12:13], s[10:11], v[20:21]
	v_fma_f64 v[108:109], s[2:3], v[16:17], v[112:113]
	v_add_f64 v[18:19], v[30:31], -v[26:27]
	v_add_f64 v[20:21], v[36:37], -v[32:33]
	;; [unrolled: 1-line block ×3, first 2 shown]
	v_fmac_f64_e32 v[112:113], s[12:13], v[16:17]
	v_fmac_f64_e32 v[108:109], s[8:9], v[18:19]
	v_add_f64 v[20:21], v[20:21], v[22:23]
	v_fmac_f64_e32 v[112:113], s[14:15], v[18:19]
	v_fmac_f64_e32 v[108:109], s[10:11], v[20:21]
	;; [unrolled: 1-line block ×3, first 2 shown]
	v_add_f64 v[20:21], v[36:37], v[110:111]
	v_fmac_f64_e32 v[14:15], -0.5, v[20:21]
	v_fma_f64 v[120:121], s[12:13], v[18:19], v[14:15]
	v_fmac_f64_e32 v[14:15], s[2:3], v[18:19]
	v_fmac_f64_e32 v[120:121], s[8:9], v[16:17]
	;; [unrolled: 1-line block ×3, first 2 shown]
	v_add_f64 v[16:17], v[8:9], v[104:105]
	v_add_f64 v[16:17], v[16:17], v[80:81]
	;; [unrolled: 1-line block ×3, first 2 shown]
	v_add_f64 v[20:21], v[32:33], -v[36:37]
	v_add_f64 v[22:23], v[28:29], -v[110:111]
	s_waitcnt lgkmcnt(0)
	v_add_f64 v[36:37], v[16:17], v[38:39]
	v_add_f64 v[16:17], v[80:81], v[42:43]
	;; [unrolled: 1-line block ×3, first 2 shown]
	v_fma_f64 v[30:31], -0.5, v[16:17], v[8:9]
	v_add_f64 v[16:17], v[106:107], -v[40:41]
	v_fmac_f64_e32 v[120:121], s[10:11], v[20:21]
	v_fmac_f64_e32 v[14:15], s[10:11], v[20:21]
	v_fma_f64 v[18:19], s[12:13], v[16:17], v[30:31]
	v_add_f64 v[20:21], v[82:83], -v[44:45]
	v_add_f64 v[22:23], v[104:105], -v[80:81]
	;; [unrolled: 1-line block ×3, first 2 shown]
	v_fmac_f64_e32 v[30:31], s[2:3], v[16:17]
	v_fmac_f64_e32 v[18:19], s[14:15], v[20:21]
	v_add_f64 v[22:23], v[22:23], v[24:25]
	v_fmac_f64_e32 v[30:31], s[8:9], v[20:21]
	v_fmac_f64_e32 v[18:19], s[10:11], v[22:23]
	v_fmac_f64_e32 v[30:31], s[10:11], v[22:23]
	v_add_f64 v[22:23], v[104:105], v[38:39]
	v_fmac_f64_e32 v[8:9], -0.5, v[22:23]
	v_fma_f64 v[34:35], s[2:3], v[20:21], v[8:9]
	v_fmac_f64_e32 v[8:9], s[12:13], v[20:21]
	v_fmac_f64_e32 v[34:35], s[14:15], v[16:17]
	;; [unrolled: 1-line block ×3, first 2 shown]
	v_add_f64 v[16:17], v[10:11], v[106:107]
	v_add_f64 v[16:17], v[16:17], v[82:83]
	;; [unrolled: 1-line block ×3, first 2 shown]
	v_add_f64 v[22:23], v[80:81], -v[104:105]
	v_add_f64 v[24:25], v[42:43], -v[38:39]
	v_add_f64 v[110:111], v[16:17], v[40:41]
	v_add_f64 v[16:17], v[82:83], v[44:45]
	;; [unrolled: 1-line block ×3, first 2 shown]
	v_fma_f64 v[124:125], -0.5, v[16:17], v[10:11]
	v_add_f64 v[16:17], v[104:105], -v[38:39]
	v_fmac_f64_e32 v[34:35], s[10:11], v[22:23]
	v_fmac_f64_e32 v[8:9], s[10:11], v[22:23]
	v_fma_f64 v[22:23], s[2:3], v[16:17], v[124:125]
	v_add_f64 v[20:21], v[80:81], -v[42:43]
	v_add_f64 v[24:25], v[106:107], -v[82:83]
	;; [unrolled: 1-line block ×3, first 2 shown]
	v_fmac_f64_e32 v[124:125], s[12:13], v[16:17]
	v_fmac_f64_e32 v[22:23], s[8:9], v[20:21]
	v_add_f64 v[24:25], v[24:25], v[26:27]
	v_fmac_f64_e32 v[124:125], s[14:15], v[20:21]
	v_fmac_f64_e32 v[22:23], s[10:11], v[24:25]
	v_fmac_f64_e32 v[124:125], s[10:11], v[24:25]
	v_add_f64 v[24:25], v[106:107], v[40:41]
	v_fmac_f64_e32 v[10:11], -0.5, v[24:25]
	v_fma_f64 v[38:39], s[12:13], v[20:21], v[10:11]
	v_add_f64 v[24:25], v[82:83], -v[106:107]
	v_add_f64 v[26:27], v[44:45], -v[40:41]
	v_fmac_f64_e32 v[10:11], s[2:3], v[20:21]
	v_fmac_f64_e32 v[38:39], s[8:9], v[16:17]
	v_add_f64 v[24:25], v[24:25], v[26:27]
	v_fmac_f64_e32 v[10:11], s[14:15], v[16:17]
	v_fmac_f64_e32 v[38:39], s[10:11], v[24:25]
	;; [unrolled: 1-line block ×3, first 2 shown]
	v_mul_f64 v[42:43], v[22:23], s[14:15]
	v_mul_f64 v[44:45], v[38:39], s[12:13]
	;; [unrolled: 1-line block ×8, first 2 shown]
	v_fmac_f64_e32 v[42:43], s[22:23], v[18:19]
	v_fmac_f64_e32 v[44:45], s[10:11], v[34:35]
	;; [unrolled: 1-line block ×8, first 2 shown]
	v_add_f64 v[24:25], v[116:117], v[36:37]
	v_add_f64 v[20:21], v[118:119], v[42:43]
	;; [unrolled: 1-line block ×10, first 2 shown]
	v_add_f64 v[40:41], v[116:117], -v[36:37]
	v_add_f64 v[36:37], v[118:119], -v[42:43]
	;; [unrolled: 1-line block ×10, first 2 shown]
	s_waitcnt lgkmcnt(0)
	; wave barrier
	ds_write_b128 v139, v[168:171]
	ds_write_b128 v139, v[172:175] offset:16
	ds_write_b128 v139, v[176:179] offset:32
	ds_write_b128 v139, v[152:155] offset:48
	ds_write_b128 v139, v[164:167] offset:64
	ds_write_b128 v139, v[92:95] offset:80
	ds_write_b128 v139, v[96:99] offset:96
	ds_write_b128 v139, v[100:103] offset:112
	ds_write_b128 v139, v[84:87] offset:128
	ds_write_b128 v139, v[88:91] offset:144
	ds_write_b128 v137, v[68:71]
	ds_write_b128 v137, v[72:75] offset:16
	ds_write_b128 v137, v[76:79] offset:32
	ds_write_b128 v137, v[60:63] offset:48
	ds_write_b128 v137, v[64:67] offset:64
	ds_write_b128 v137, v[48:51] offset:80
	ds_write_b128 v137, v[52:55] offset:96
	ds_write_b128 v137, v[56:59] offset:112
	ds_write_b128 v137, v[0:3] offset:128
	ds_write_b128 v137, v[4:7] offset:144
	;; [unrolled: 10-line block ×3, first 2 shown]
	s_waitcnt lgkmcnt(0)
	; wave barrier
	s_waitcnt lgkmcnt(0)
	ds_read_b128 v[0:3], v185
	ds_read_b128 v[116:119], v185 offset:480
	ds_read_b128 v[112:115], v185 offset:960
	;; [unrolled: 1-line block ×29, first 2 shown]
	s_waitcnt lgkmcnt(14)
	v_mul_f64 v[120:121], v[146:147], v[118:119]
	v_fmac_f64_e32 v[120:121], v[144:145], v[116:117]
	v_mul_f64 v[116:117], v[146:147], v[116:117]
	v_fma_f64 v[116:117], v[144:145], v[118:119], -v[116:117]
	v_mul_f64 v[118:119], v[134:135], v[114:115]
	v_fmac_f64_e32 v[118:119], v[132:133], v[112:113]
	v_mul_f64 v[112:113], v[134:135], v[112:113]
	v_fma_f64 v[112:113], v[132:133], v[114:115], -v[112:113]
	v_mul_f64 v[114:115], v[162:163], v[110:111]
	v_mul_f64 v[122:123], v[206:207], v[102:103]
	v_fmac_f64_e32 v[114:115], v[160:161], v[108:109]
	v_mul_f64 v[108:109], v[162:163], v[108:109]
	v_fmac_f64_e32 v[122:123], v[204:205], v[100:101]
	v_mul_f64 v[100:101], v[206:207], v[100:101]
	v_fma_f64 v[108:109], v[160:161], v[110:111], -v[108:109]
	v_fma_f64 v[110:111], v[204:205], v[102:103], -v[100:101]
	v_mul_f64 v[102:103], v[150:151], v[106:107]
	v_fmac_f64_e32 v[102:103], v[148:149], v[104:105]
	v_mul_f64 v[100:101], v[150:151], v[104:105]
	v_mul_f64 v[104:105], v[142:143], v[98:99]
	v_fmac_f64_e32 v[104:105], v[140:141], v[96:97]
	v_mul_f64 v[96:97], v[142:143], v[96:97]
	v_fma_f64 v[96:97], v[140:141], v[98:99], -v[96:97]
	v_mul_f64 v[98:99], v[130:131], v[94:95]
	v_fmac_f64_e32 v[98:99], v[128:129], v[92:93]
	v_mul_f64 v[92:93], v[130:131], v[92:93]
	v_fma_f64 v[92:93], v[128:129], v[94:95], -v[92:93]
	v_mul_f64 v[94:95], v[158:159], v[90:91]
	v_fmac_f64_e32 v[94:95], v[156:157], v[88:89]
	v_mul_f64 v[88:89], v[158:159], v[88:89]
	s_waitcnt lgkmcnt(10)
	v_mul_f64 v[176:177], v[158:159], v[58:59]
	v_fma_f64 v[88:89], v[156:157], v[90:91], -v[88:89]
	v_mul_f64 v[90:91], v[146:147], v[86:87]
	v_fmac_f64_e32 v[176:177], v[156:157], v[56:57]
	v_mul_f64 v[56:57], v[158:159], v[56:57]
	v_fma_f64 v[100:101], v[148:149], v[106:107], -v[100:101]
	v_fmac_f64_e32 v[90:91], v[144:145], v[84:85]
	v_mul_f64 v[84:85], v[146:147], v[84:85]
	v_mul_f64 v[146:147], v[162:163], v[78:79]
	v_fma_f64 v[106:107], v[156:157], v[58:59], -v[56:57]
	v_accvgpr_read_b32 v56, a128
	v_fmac_f64_e32 v[146:147], v[160:161], v[76:77]
	v_mul_f64 v[76:77], v[162:163], v[76:77]
	v_accvgpr_read_b32 v58, a130
	v_accvgpr_read_b32 v59, a131
	v_fma_f64 v[126:127], v[160:161], v[78:79], -v[76:77]
	v_mul_f64 v[76:77], v[130:131], v[62:63]
	v_accvgpr_read_b32 v57, a129
	s_waitcnt lgkmcnt(8)
	v_mul_f64 v[136:137], v[58:59], v[54:55]
	v_fmac_f64_e32 v[76:77], v[128:129], v[60:61]
	v_mul_f64 v[60:61], v[130:131], v[60:61]
	v_fmac_f64_e32 v[136:137], v[56:57], v[52:53]
	v_mul_f64 v[52:53], v[58:59], v[52:53]
	v_fma_f64 v[172:173], v[128:129], v[62:63], -v[60:61]
	v_fma_f64 v[128:129], v[56:57], v[54:55], -v[52:53]
	v_accvgpr_read_b32 v52, a132
	v_accvgpr_read_b32 v54, a134
	v_accvgpr_read_b32 v55, a135
	v_accvgpr_read_b32 v53, a133
	s_waitcnt lgkmcnt(7)
	v_mul_f64 v[138:139], v[54:55], v[50:51]
	v_fmac_f64_e32 v[138:139], v[52:53], v[48:49]
	v_mul_f64 v[48:49], v[54:55], v[48:49]
	v_fma_f64 v[130:131], v[52:53], v[50:51], -v[48:49]
	v_accvgpr_read_b32 v48, a136
	v_accvgpr_read_b32 v50, a138
	v_accvgpr_read_b32 v51, a139
	v_accvgpr_read_b32 v49, a137
	s_waitcnt lgkmcnt(6)
	v_mul_f64 v[174:175], v[50:51], v[46:47]
	v_fmac_f64_e32 v[174:175], v[48:49], v[44:45]
	v_mul_f64 v[44:45], v[50:51], v[44:45]
	;; [unrolled: 9-line block ×3, first 2 shown]
	v_fma_f64 v[40:41], v[44:45], v[42:43], -v[40:41]
	v_accvgpr_read_b32 v42, a144
	v_fma_f64 v[84:85], v[144:145], v[86:87], -v[84:85]
	v_mul_f64 v[144:145], v[134:135], v[82:83]
	v_accvgpr_read_b32 v44, a146
	v_accvgpr_read_b32 v45, a147
	v_fmac_f64_e32 v[144:145], v[132:133], v[80:81]
	v_mul_f64 v[80:81], v[134:135], v[80:81]
	v_accvgpr_read_b32 v43, a145
	s_waitcnt lgkmcnt(3)
	v_mul_f64 v[134:135], v[44:45], v[38:39]
	v_fmac_f64_e32 v[134:135], v[42:43], v[36:37]
	v_mul_f64 v[36:37], v[44:45], v[36:37]
	v_fma_f64 v[42:43], v[42:43], v[38:39], -v[36:37]
	v_accvgpr_read_b32 v36, a148
	v_mul_f64 v[166:167], v[142:143], v[66:67]
	v_accvgpr_read_b32 v38, a150
	v_accvgpr_read_b32 v39, a151
	v_fmac_f64_e32 v[166:167], v[140:141], v[64:65]
	v_mul_f64 v[64:65], v[142:143], v[64:65]
	v_accvgpr_read_b32 v37, a149
	s_waitcnt lgkmcnt(2)
	v_mul_f64 v[142:143], v[38:39], v[34:35]
	v_fmac_f64_e32 v[142:143], v[36:37], v[32:33]
	v_mul_f64 v[32:33], v[38:39], v[32:33]
	v_fma_f64 v[152:153], v[36:37], v[34:35], -v[32:33]
	v_accvgpr_read_b32 v32, a152
	v_accvgpr_read_b32 v34, a154
	;; [unrolled: 1-line block ×4, first 2 shown]
	s_waitcnt lgkmcnt(1)
	v_mul_f64 v[162:163], v[34:35], v[30:31]
	v_fmac_f64_e32 v[162:163], v[32:33], v[28:29]
	v_mul_f64 v[28:29], v[34:35], v[28:29]
	v_fma_f64 v[154:155], v[32:33], v[30:31], -v[28:29]
	v_accvgpr_read_b32 v28, a156
	v_accvgpr_read_b32 v30, a158
	v_accvgpr_read_b32 v31, a159
	v_accvgpr_read_b32 v29, a157
	s_waitcnt lgkmcnt(0)
	v_mul_f64 v[164:165], v[30:31], v[26:27]
	v_fmac_f64_e32 v[164:165], v[28:29], v[24:25]
	v_mul_f64 v[24:25], v[30:31], v[24:25]
	v_fma_f64 v[160:161], v[28:29], v[26:27], -v[24:25]
	v_add_f64 v[24:25], v[0:1], v[120:121]
	v_add_f64 v[24:25], v[24:25], v[118:119]
	;; [unrolled: 1-line block ×3, first 2 shown]
	v_fma_f64 v[86:87], v[132:133], v[82:83], -v[80:81]
	v_mul_f64 v[78:79], v[206:207], v[74:75]
	v_add_f64 v[80:81], v[24:25], v[122:123]
	v_add_f64 v[24:25], v[118:119], v[114:115]
	v_fmac_f64_e32 v[78:79], v[204:205], v[72:73]
	v_mul_f64 v[72:73], v[206:207], v[72:73]
	v_fma_f64 v[56:57], -0.5, v[24:25], v[0:1]
	v_add_f64 v[24:25], v[116:117], -v[110:111]
	v_fma_f64 v[170:171], v[204:205], v[74:75], -v[72:73]
	v_fma_f64 v[72:73], s[12:13], v[24:25], v[56:57]
	v_add_f64 v[26:27], v[112:113], -v[108:109]
	v_add_f64 v[28:29], v[120:121], -v[118:119]
	;; [unrolled: 1-line block ×3, first 2 shown]
	v_fmac_f64_e32 v[56:57], s[2:3], v[24:25]
	v_fmac_f64_e32 v[72:73], s[14:15], v[26:27]
	v_add_f64 v[28:29], v[28:29], v[30:31]
	v_fmac_f64_e32 v[56:57], s[8:9], v[26:27]
	v_fmac_f64_e32 v[72:73], s[10:11], v[28:29]
	;; [unrolled: 1-line block ×3, first 2 shown]
	v_add_f64 v[28:29], v[120:121], v[122:123]
	v_fmac_f64_e32 v[0:1], -0.5, v[28:29]
	v_fma_f64 v[140:141], v[140:141], v[66:67], -v[64:65]
	v_fma_f64 v[64:65], s[2:3], v[26:27], v[0:1]
	v_fmac_f64_e32 v[0:1], s[12:13], v[26:27]
	v_fmac_f64_e32 v[64:65], s[14:15], v[24:25]
	;; [unrolled: 1-line block ×3, first 2 shown]
	v_add_f64 v[24:25], v[2:3], v[116:117]
	v_add_f64 v[24:25], v[24:25], v[112:113]
	;; [unrolled: 1-line block ×3, first 2 shown]
	v_add_f64 v[28:29], v[118:119], -v[120:121]
	v_add_f64 v[30:31], v[114:115], -v[122:123]
	v_add_f64 v[82:83], v[24:25], v[110:111]
	v_add_f64 v[24:25], v[112:113], v[108:109]
	;; [unrolled: 1-line block ×3, first 2 shown]
	v_fma_f64 v[58:59], -0.5, v[24:25], v[2:3]
	v_add_f64 v[24:25], v[120:121], -v[122:123]
	v_fmac_f64_e32 v[64:65], s[10:11], v[28:29]
	v_fmac_f64_e32 v[0:1], s[10:11], v[28:29]
	v_fma_f64 v[74:75], s[2:3], v[24:25], v[58:59]
	v_add_f64 v[26:27], v[118:119], -v[114:115]
	v_add_f64 v[28:29], v[116:117], -v[112:113]
	;; [unrolled: 1-line block ×3, first 2 shown]
	v_fmac_f64_e32 v[58:59], s[12:13], v[24:25]
	v_fmac_f64_e32 v[74:75], s[8:9], v[26:27]
	v_add_f64 v[28:29], v[28:29], v[30:31]
	v_fmac_f64_e32 v[58:59], s[14:15], v[26:27]
	v_fmac_f64_e32 v[74:75], s[10:11], v[28:29]
	;; [unrolled: 1-line block ×3, first 2 shown]
	v_add_f64 v[28:29], v[116:117], v[110:111]
	v_fmac_f64_e32 v[2:3], -0.5, v[28:29]
	v_fma_f64 v[66:67], s[12:13], v[26:27], v[2:3]
	v_fmac_f64_e32 v[2:3], s[2:3], v[26:27]
	v_fmac_f64_e32 v[66:67], s[8:9], v[24:25]
	;; [unrolled: 1-line block ×3, first 2 shown]
	v_add_f64 v[24:25], v[4:5], v[102:103]
	v_add_f64 v[24:25], v[24:25], v[104:105]
	;; [unrolled: 1-line block ×3, first 2 shown]
	v_mul_f64 v[132:133], v[150:151], v[70:71]
	v_add_f64 v[28:29], v[112:113], -v[116:117]
	v_add_f64 v[30:31], v[108:109], -v[110:111]
	v_add_f64 v[108:109], v[24:25], v[94:95]
	v_add_f64 v[24:25], v[104:105], v[98:99]
	v_fmac_f64_e32 v[132:133], v[148:149], v[68:69]
	v_mul_f64 v[68:69], v[150:151], v[68:69]
	v_add_f64 v[28:29], v[28:29], v[30:31]
	v_fma_f64 v[48:49], -0.5, v[24:25], v[4:5]
	v_add_f64 v[24:25], v[100:101], -v[88:89]
	v_fma_f64 v[124:125], v[148:149], v[70:71], -v[68:69]
	v_fmac_f64_e32 v[66:67], s[10:11], v[28:29]
	v_fmac_f64_e32 v[2:3], s[10:11], v[28:29]
	v_fma_f64 v[68:69], s[12:13], v[24:25], v[48:49]
	v_add_f64 v[26:27], v[96:97], -v[92:93]
	v_add_f64 v[28:29], v[102:103], -v[104:105]
	v_add_f64 v[30:31], v[94:95], -v[98:99]
	v_fmac_f64_e32 v[48:49], s[2:3], v[24:25]
	v_fmac_f64_e32 v[68:69], s[14:15], v[26:27]
	v_add_f64 v[28:29], v[28:29], v[30:31]
	v_fmac_f64_e32 v[48:49], s[8:9], v[26:27]
	v_fmac_f64_e32 v[68:69], s[10:11], v[28:29]
	v_fmac_f64_e32 v[48:49], s[10:11], v[28:29]
	v_add_f64 v[28:29], v[102:103], v[94:95]
	v_fmac_f64_e32 v[4:5], -0.5, v[28:29]
	v_fma_f64 v[60:61], s[2:3], v[26:27], v[4:5]
	v_fmac_f64_e32 v[4:5], s[12:13], v[26:27]
	v_fmac_f64_e32 v[60:61], s[14:15], v[24:25]
	v_fmac_f64_e32 v[4:5], s[8:9], v[24:25]
	v_add_f64 v[24:25], v[6:7], v[100:101]
	v_add_f64 v[24:25], v[24:25], v[96:97]
	v_add_f64 v[24:25], v[24:25], v[92:93]
	v_add_f64 v[28:29], v[104:105], -v[102:103]
	v_add_f64 v[30:31], v[98:99], -v[94:95]
	v_add_f64 v[110:111], v[24:25], v[88:89]
	v_add_f64 v[24:25], v[96:97], v[92:93]
	v_add_f64 v[28:29], v[28:29], v[30:31]
	v_fma_f64 v[50:51], -0.5, v[24:25], v[6:7]
	v_add_f64 v[24:25], v[102:103], -v[94:95]
	v_fmac_f64_e32 v[60:61], s[10:11], v[28:29]
	v_fmac_f64_e32 v[4:5], s[10:11], v[28:29]
	v_fma_f64 v[70:71], s[2:3], v[24:25], v[50:51]
	v_add_f64 v[26:27], v[104:105], -v[98:99]
	v_add_f64 v[28:29], v[100:101], -v[96:97]
	v_add_f64 v[30:31], v[88:89], -v[92:93]
	v_fmac_f64_e32 v[50:51], s[12:13], v[24:25]
	v_fmac_f64_e32 v[70:71], s[8:9], v[26:27]
	v_add_f64 v[28:29], v[28:29], v[30:31]
	v_fmac_f64_e32 v[50:51], s[14:15], v[26:27]
	v_fmac_f64_e32 v[70:71], s[10:11], v[28:29]
	v_fmac_f64_e32 v[50:51], s[10:11], v[28:29]
	v_add_f64 v[28:29], v[100:101], v[88:89]
	v_fmac_f64_e32 v[6:7], -0.5, v[28:29]
	v_fma_f64 v[62:63], s[12:13], v[26:27], v[6:7]
	v_fmac_f64_e32 v[6:7], s[2:3], v[26:27]
	v_fmac_f64_e32 v[62:63], s[8:9], v[24:25]
	v_fmac_f64_e32 v[6:7], s[14:15], v[24:25]
	v_add_f64 v[24:25], v[8:9], v[90:91]
	v_add_f64 v[24:25], v[24:25], v[144:145]
	v_add_f64 v[24:25], v[24:25], v[146:147]
	v_add_f64 v[28:29], v[96:97], -v[100:101]
	v_add_f64 v[30:31], v[92:93], -v[88:89]
	v_add_f64 v[92:93], v[24:25], v[78:79]
	v_add_f64 v[24:25], v[144:145], v[146:147]
	v_add_f64 v[28:29], v[28:29], v[30:31]
	v_fma_f64 v[36:37], -0.5, v[24:25], v[8:9]
	v_add_f64 v[24:25], v[84:85], -v[170:171]
	v_fmac_f64_e32 v[62:63], s[10:11], v[28:29]
	v_fmac_f64_e32 v[6:7], s[10:11], v[28:29]
	v_fma_f64 v[44:45], s[12:13], v[24:25], v[36:37]
	v_add_f64 v[26:27], v[86:87], -v[126:127]
	v_add_f64 v[28:29], v[90:91], -v[144:145]
	v_add_f64 v[30:31], v[78:79], -v[146:147]
	v_fmac_f64_e32 v[36:37], s[2:3], v[24:25]
	v_fmac_f64_e32 v[44:45], s[14:15], v[26:27]
	v_add_f64 v[28:29], v[28:29], v[30:31]
	v_fmac_f64_e32 v[36:37], s[8:9], v[26:27]
	v_fmac_f64_e32 v[44:45], s[10:11], v[28:29]
	v_fmac_f64_e32 v[36:37], s[10:11], v[28:29]
	v_add_f64 v[28:29], v[90:91], v[78:79]
	v_fmac_f64_e32 v[8:9], -0.5, v[28:29]
	v_fma_f64 v[156:157], s[2:3], v[26:27], v[8:9]
	v_fmac_f64_e32 v[8:9], s[12:13], v[26:27]
	v_fmac_f64_e32 v[156:157], s[14:15], v[24:25]
	v_fmac_f64_e32 v[8:9], s[8:9], v[24:25]
	v_add_f64 v[24:25], v[10:11], v[84:85]
	v_add_f64 v[24:25], v[24:25], v[86:87]
	v_add_f64 v[24:25], v[24:25], v[126:127]
	v_add_f64 v[28:29], v[144:145], -v[90:91]
	v_add_f64 v[30:31], v[146:147], -v[78:79]
	v_add_f64 v[94:95], v[24:25], v[170:171]
	v_add_f64 v[24:25], v[86:87], v[126:127]
	v_add_f64 v[28:29], v[28:29], v[30:31]
	v_fma_f64 v[38:39], -0.5, v[24:25], v[10:11]
	v_add_f64 v[24:25], v[90:91], -v[78:79]
	v_fmac_f64_e32 v[156:157], s[10:11], v[28:29]
	v_fmac_f64_e32 v[8:9], s[10:11], v[28:29]
	v_fma_f64 v[46:47], s[2:3], v[24:25], v[38:39]
	v_add_f64 v[26:27], v[144:145], -v[146:147]
	v_add_f64 v[28:29], v[84:85], -v[86:87]
	v_add_f64 v[30:31], v[170:171], -v[126:127]
	v_fmac_f64_e32 v[38:39], s[12:13], v[24:25]
	v_fmac_f64_e32 v[46:47], s[8:9], v[26:27]
	v_add_f64 v[28:29], v[28:29], v[30:31]
	v_fmac_f64_e32 v[38:39], s[14:15], v[26:27]
	v_fmac_f64_e32 v[46:47], s[10:11], v[28:29]
	v_fmac_f64_e32 v[38:39], s[10:11], v[28:29]
	v_add_f64 v[28:29], v[84:85], v[170:171]
	v_fmac_f64_e32 v[10:11], -0.5, v[28:29]
	v_fma_f64 v[158:159], s[12:13], v[26:27], v[10:11]
	v_fmac_f64_e32 v[10:11], s[2:3], v[26:27]
	v_fmac_f64_e32 v[158:159], s[8:9], v[24:25]
	v_fmac_f64_e32 v[10:11], s[14:15], v[24:25]
	v_add_f64 v[24:25], v[12:13], v[132:133]
	v_add_f64 v[24:25], v[24:25], v[166:167]
	v_add_f64 v[24:25], v[24:25], v[76:77]
	v_add_f64 v[28:29], v[86:87], -v[84:85]
	v_add_f64 v[30:31], v[126:127], -v[170:171]
	v_add_f64 v[84:85], v[24:25], v[176:177]
	v_add_f64 v[24:25], v[166:167], v[76:77]
	v_add_f64 v[28:29], v[28:29], v[30:31]
	v_fma_f64 v[148:149], -0.5, v[24:25], v[12:13]
	v_add_f64 v[24:25], v[124:125], -v[106:107]
	v_fmac_f64_e32 v[158:159], s[10:11], v[28:29]
	v_fmac_f64_e32 v[10:11], s[10:11], v[28:29]
	v_fma_f64 v[32:33], s[12:13], v[24:25], v[148:149]
	v_add_f64 v[26:27], v[140:141], -v[172:173]
	v_add_f64 v[28:29], v[132:133], -v[166:167]
	v_add_f64 v[30:31], v[176:177], -v[76:77]
	v_fmac_f64_e32 v[148:149], s[2:3], v[24:25]
	v_fmac_f64_e32 v[32:33], s[14:15], v[26:27]
	v_add_f64 v[28:29], v[28:29], v[30:31]
	v_fmac_f64_e32 v[148:149], s[8:9], v[26:27]
	v_fmac_f64_e32 v[32:33], s[10:11], v[28:29]
	v_fmac_f64_e32 v[148:149], s[10:11], v[28:29]
	v_add_f64 v[28:29], v[132:133], v[176:177]
	v_fmac_f64_e32 v[12:13], -0.5, v[28:29]
	v_fma_f64 v[28:29], s[2:3], v[26:27], v[12:13]
	v_fmac_f64_e32 v[12:13], s[12:13], v[26:27]
	v_fmac_f64_e32 v[28:29], s[14:15], v[24:25]
	v_fmac_f64_e32 v[12:13], s[8:9], v[24:25]
	v_add_f64 v[24:25], v[14:15], v[124:125]
	v_add_f64 v[24:25], v[24:25], v[140:141]
	v_add_f64 v[24:25], v[24:25], v[172:173]
	v_add_f64 v[30:31], v[166:167], -v[132:133]
	v_add_f64 v[34:35], v[76:77], -v[176:177]
	v_add_f64 v[86:87], v[24:25], v[106:107]
	v_add_f64 v[24:25], v[140:141], v[172:173]
	v_add_f64 v[30:31], v[30:31], v[34:35]
	v_fma_f64 v[150:151], -0.5, v[24:25], v[14:15]
	v_add_f64 v[24:25], v[132:133], -v[176:177]
	v_fmac_f64_e32 v[28:29], s[10:11], v[30:31]
	v_fmac_f64_e32 v[12:13], s[10:11], v[30:31]
	v_fma_f64 v[34:35], s[2:3], v[24:25], v[150:151]
	v_add_f64 v[26:27], v[166:167], -v[76:77]
	v_add_f64 v[30:31], v[124:125], -v[140:141]
	;; [unrolled: 1-line block ×3, first 2 shown]
	v_fmac_f64_e32 v[150:151], s[12:13], v[24:25]
	v_fmac_f64_e32 v[34:35], s[8:9], v[26:27]
	v_add_f64 v[30:31], v[30:31], v[54:55]
	v_fmac_f64_e32 v[150:151], s[14:15], v[26:27]
	v_fmac_f64_e32 v[34:35], s[10:11], v[30:31]
	;; [unrolled: 1-line block ×3, first 2 shown]
	v_add_f64 v[30:31], v[124:125], v[106:107]
	v_fmac_f64_e32 v[14:15], -0.5, v[30:31]
	v_fma_f64 v[30:31], s[12:13], v[26:27], v[14:15]
	v_add_f64 v[54:55], v[140:141], -v[124:125]
	v_add_f64 v[76:77], v[172:173], -v[106:107]
	v_fmac_f64_e32 v[14:15], s[2:3], v[26:27]
	v_add_f64 v[26:27], v[138:139], v[174:175]
	v_fmac_f64_e32 v[30:31], s[8:9], v[24:25]
	v_add_f64 v[54:55], v[54:55], v[76:77]
	v_fmac_f64_e32 v[14:15], s[14:15], v[24:25]
	v_fma_f64 v[120:121], -0.5, v[26:27], v[16:17]
	v_add_f64 v[26:27], v[128:129], -v[40:41]
	v_fmac_f64_e32 v[30:31], s[10:11], v[54:55]
	v_fmac_f64_e32 v[14:15], s[10:11], v[54:55]
	v_fma_f64 v[144:145], s[12:13], v[26:27], v[120:121]
	v_add_f64 v[54:55], v[130:131], -v[168:169]
	v_add_f64 v[76:77], v[136:137], -v[138:139]
	v_add_f64 v[78:79], v[52:53], -v[174:175]
	v_fmac_f64_e32 v[120:121], s[2:3], v[26:27]
	v_fmac_f64_e32 v[144:145], s[14:15], v[54:55]
	v_add_f64 v[76:77], v[76:77], v[78:79]
	v_fmac_f64_e32 v[120:121], s[8:9], v[54:55]
	v_add_f64 v[24:25], v[16:17], v[136:137]
	v_fmac_f64_e32 v[144:145], s[10:11], v[76:77]
	v_fmac_f64_e32 v[120:121], s[10:11], v[76:77]
	v_add_f64 v[76:77], v[136:137], v[52:53]
	v_add_f64 v[24:25], v[24:25], v[138:139]
	v_fmac_f64_e32 v[16:17], -0.5, v[76:77]
	v_add_f64 v[24:25], v[24:25], v[174:175]
	v_fma_f64 v[124:125], s[2:3], v[54:55], v[16:17]
	v_add_f64 v[76:77], v[138:139], -v[136:137]
	v_add_f64 v[78:79], v[174:175], -v[52:53]
	v_fmac_f64_e32 v[16:17], s[12:13], v[54:55]
	v_add_f64 v[54:55], v[130:131], v[168:169]
	v_add_f64 v[24:25], v[24:25], v[52:53]
	v_fmac_f64_e32 v[124:125], s[14:15], v[26:27]
	v_add_f64 v[76:77], v[76:77], v[78:79]
	v_fmac_f64_e32 v[16:17], s[8:9], v[26:27]
	v_fma_f64 v[122:123], -0.5, v[54:55], v[18:19]
	v_add_f64 v[52:53], v[136:137], -v[52:53]
	v_fmac_f64_e32 v[124:125], s[10:11], v[76:77]
	v_fmac_f64_e32 v[16:17], s[10:11], v[76:77]
	v_fma_f64 v[146:147], s[2:3], v[52:53], v[122:123]
	v_add_f64 v[54:55], v[138:139], -v[174:175]
	v_add_f64 v[76:77], v[128:129], -v[130:131]
	;; [unrolled: 1-line block ×3, first 2 shown]
	v_fmac_f64_e32 v[122:123], s[12:13], v[52:53]
	v_add_f64 v[26:27], v[18:19], v[128:129]
	v_fmac_f64_e32 v[146:147], s[8:9], v[54:55]
	v_add_f64 v[76:77], v[76:77], v[78:79]
	;; [unrolled: 2-line block ×3, first 2 shown]
	v_fmac_f64_e32 v[146:147], s[10:11], v[76:77]
	v_fmac_f64_e32 v[122:123], s[10:11], v[76:77]
	v_add_f64 v[76:77], v[128:129], v[40:41]
	v_add_f64 v[26:27], v[26:27], v[168:169]
	v_fmac_f64_e32 v[18:19], -0.5, v[76:77]
	v_add_f64 v[26:27], v[26:27], v[40:41]
	v_fma_f64 v[126:127], s[12:13], v[54:55], v[18:19]
	v_add_f64 v[76:77], v[130:131], -v[128:129]
	v_add_f64 v[40:41], v[168:169], -v[40:41]
	v_fmac_f64_e32 v[18:19], s[2:3], v[54:55]
	v_fmac_f64_e32 v[126:127], s[8:9], v[52:53]
	v_add_f64 v[40:41], v[76:77], v[40:41]
	v_fmac_f64_e32 v[18:19], s[14:15], v[52:53]
	v_fmac_f64_e32 v[126:127], s[10:11], v[40:41]
	;; [unrolled: 1-line block ×3, first 2 shown]
	v_add_f64 v[40:41], v[20:21], v[134:135]
	v_add_f64 v[40:41], v[40:41], v[142:143]
	;; [unrolled: 1-line block ×5, first 2 shown]
	v_fma_f64 v[128:129], -0.5, v[40:41], v[20:21]
	v_add_f64 v[40:41], v[42:43], -v[160:161]
	v_fma_f64 v[132:133], s[12:13], v[40:41], v[128:129]
	v_add_f64 v[52:53], v[152:153], -v[154:155]
	v_add_f64 v[54:55], v[134:135], -v[142:143]
	;; [unrolled: 1-line block ×3, first 2 shown]
	v_fmac_f64_e32 v[128:129], s[2:3], v[40:41]
	v_fmac_f64_e32 v[132:133], s[14:15], v[52:53]
	v_add_f64 v[54:55], v[54:55], v[76:77]
	v_fmac_f64_e32 v[128:129], s[8:9], v[52:53]
	v_fmac_f64_e32 v[132:133], s[10:11], v[54:55]
	;; [unrolled: 1-line block ×3, first 2 shown]
	v_add_f64 v[54:55], v[134:135], v[164:165]
	v_fmac_f64_e32 v[20:21], -0.5, v[54:55]
	v_fma_f64 v[140:141], s[2:3], v[52:53], v[20:21]
	v_fmac_f64_e32 v[20:21], s[12:13], v[52:53]
	v_fmac_f64_e32 v[140:141], s[14:15], v[40:41]
	;; [unrolled: 1-line block ×3, first 2 shown]
	v_add_f64 v[40:41], v[22:23], v[42:43]
	v_add_f64 v[40:41], v[40:41], v[152:153]
	v_add_f64 v[40:41], v[40:41], v[154:155]
	v_add_f64 v[54:55], v[142:143], -v[134:135]
	v_add_f64 v[76:77], v[162:163], -v[164:165]
	v_add_f64 v[138:139], v[40:41], v[160:161]
	v_add_f64 v[40:41], v[152:153], v[154:155]
	;; [unrolled: 1-line block ×3, first 2 shown]
	v_fma_f64 v[130:131], -0.5, v[40:41], v[22:23]
	v_add_f64 v[40:41], v[134:135], -v[164:165]
	v_fmac_f64_e32 v[140:141], s[10:11], v[54:55]
	v_fmac_f64_e32 v[20:21], s[10:11], v[54:55]
	v_fma_f64 v[134:135], s[2:3], v[40:41], v[130:131]
	v_add_f64 v[52:53], v[142:143], -v[162:163]
	v_add_f64 v[54:55], v[42:43], -v[152:153]
	;; [unrolled: 1-line block ×3, first 2 shown]
	v_fmac_f64_e32 v[130:131], s[12:13], v[40:41]
	v_fmac_f64_e32 v[134:135], s[8:9], v[52:53]
	v_add_f64 v[54:55], v[54:55], v[76:77]
	v_fmac_f64_e32 v[130:131], s[14:15], v[52:53]
	v_fmac_f64_e32 v[134:135], s[10:11], v[54:55]
	;; [unrolled: 1-line block ×3, first 2 shown]
	v_add_f64 v[54:55], v[42:43], v[160:161]
	v_fmac_f64_e32 v[22:23], -0.5, v[54:55]
	v_fma_f64 v[142:143], s[12:13], v[52:53], v[22:23]
	v_add_f64 v[42:43], v[152:153], -v[42:43]
	v_add_f64 v[54:55], v[154:155], -v[160:161]
	v_fmac_f64_e32 v[22:23], s[2:3], v[52:53]
	v_fmac_f64_e32 v[142:143], s[8:9], v[40:41]
	v_add_f64 v[42:43], v[42:43], v[54:55]
	v_fmac_f64_e32 v[22:23], s[14:15], v[40:41]
	v_fmac_f64_e32 v[142:143], s[10:11], v[42:43]
	;; [unrolled: 1-line block ×3, first 2 shown]
	s_waitcnt lgkmcnt(0)
	; wave barrier
	ds_write_b128 v185, v[80:83]
	ds_write_b128 v185, v[72:75] offset:160
	ds_write_b128 v185, v[64:67] offset:320
	;; [unrolled: 1-line block ×29, first 2 shown]
	v_accvgpr_read_b32 v120, a164
	v_accvgpr_read_b32 v122, a166
	;; [unrolled: 1-line block ×3, first 2 shown]
	s_waitcnt lgkmcnt(0)
	; wave barrier
	s_waitcnt lgkmcnt(0)
	ds_read_b128 v[24:27], v185
	ds_read_b128 v[88:91], v185 offset:800
	ds_read_b128 v[76:79], v185 offset:1600
	;; [unrolled: 1-line block ×29, first 2 shown]
	v_accvgpr_read_b32 v121, a165
	s_waitcnt lgkmcnt(14)
	v_mul_f64 v[126:127], v[122:123], v[90:91]
	v_fmac_f64_e32 v[126:127], v[120:121], v[88:89]
	v_mul_f64 v[88:89], v[122:123], v[88:89]
	v_fma_f64 v[88:89], v[120:121], v[90:91], -v[88:89]
	v_accvgpr_read_b32 v120, a160
	v_accvgpr_read_b32 v122, a162
	;; [unrolled: 1-line block ×4, first 2 shown]
	v_mul_f64 v[90:91], v[122:123], v[78:79]
	v_fmac_f64_e32 v[90:91], v[120:121], v[76:77]
	v_mul_f64 v[76:77], v[122:123], v[76:77]
	v_fma_f64 v[128:129], v[120:121], v[78:79], -v[76:77]
	v_accvgpr_read_b32 v120, a172
	v_accvgpr_read_b32 v122, a174
	;; [unrolled: 1-line block ×4, first 2 shown]
	v_mul_f64 v[130:131], v[122:123], v[110:111]
	v_mul_f64 v[76:77], v[122:123], v[108:109]
	v_fmac_f64_e32 v[130:131], v[120:121], v[108:109]
	v_fma_f64 v[132:133], v[120:121], v[110:111], -v[76:77]
	v_accvgpr_read_b32 v108, a168
	v_accvgpr_read_b32 v110, a170
	;; [unrolled: 1-line block ×4, first 2 shown]
	v_mul_f64 v[76:77], v[110:111], v[112:113]
	v_fma_f64 v[136:137], v[108:109], v[114:115], -v[76:77]
	v_mul_f64 v[76:77], v[196:197], v[116:117]
	v_fma_f64 v[140:141], v[194:195], v[118:119], -v[76:77]
	;; [unrolled: 2-line block ×3, first 2 shown]
	v_mul_f64 v[146:147], v[214:215], v[102:103]
	v_mul_f64 v[76:77], v[214:215], v[100:101]
	v_fmac_f64_e32 v[146:147], v[212:213], v[100:101]
	v_fma_f64 v[100:101], v[212:213], v[102:103], -v[76:77]
	v_mul_f64 v[76:77], v[210:211], v[96:97]
	v_fma_f64 v[150:151], v[208:209], v[98:99], -v[76:77]
	v_mul_f64 v[152:153], v[222:223], v[94:95]
	v_mul_f64 v[76:77], v[222:223], v[92:93]
	s_waitcnt lgkmcnt(0)
	v_mul_f64 v[122:123], v[188:189], v[42:43]
	v_fmac_f64_e32 v[152:153], v[220:221], v[92:93]
	v_fma_f64 v[92:93], v[220:221], v[94:95], -v[76:77]
	v_mul_f64 v[154:155], v[218:219], v[86:87]
	v_mul_f64 v[76:77], v[218:219], v[84:85]
	v_fmac_f64_e32 v[122:123], v[186:187], v[40:41]
	v_mul_f64 v[40:41], v[188:189], v[40:41]
	v_fmac_f64_e32 v[154:155], v[216:217], v[84:85]
	v_fma_f64 v[84:85], v[216:217], v[86:87], -v[76:77]
	v_mul_f64 v[76:77], v[230:231], v[80:81]
	v_fma_f64 v[124:125], v[186:187], v[42:43], -v[40:41]
	v_add_f64 v[40:41], v[24:25], v[126:127]
	v_mul_f64 v[148:149], v[210:211], v[98:99]
	v_fma_f64 v[156:157], v[228:229], v[82:83], -v[76:77]
	v_mul_f64 v[98:99], v[234:235], v[66:67]
	v_add_f64 v[76:77], v[40:41], v[90:91]
	v_add_f64 v[40:41], v[126:127], v[90:91]
	v_fmac_f64_e32 v[98:99], v[232:233], v[64:65]
	v_mul_f64 v[64:65], v[234:235], v[64:65]
	v_fmac_f64_e32 v[24:25], -0.5, v[40:41]
	v_add_f64 v[40:41], v[88:89], -v[128:129]
	v_mul_f64 v[134:135], v[110:111], v[114:115]
	v_fma_f64 v[162:163], v[232:233], v[66:67], -v[64:65]
	v_fma_f64 v[64:65], s[24:25], v[40:41], v[24:25]
	v_fmac_f64_e32 v[24:25], s[6:7], v[40:41]
	v_add_f64 v[40:41], v[26:27], v[88:89]
	v_fmac_f64_e32 v[134:135], v[108:109], v[112:113]
	v_mul_f64 v[138:139], v[196:197], v[118:119]
	v_mul_f64 v[142:143], v[202:203], v[106:107]
	;; [unrolled: 1-line block ×3, first 2 shown]
	v_add_f64 v[78:79], v[40:41], v[128:129]
	v_add_f64 v[40:41], v[88:89], v[128:129]
	v_fmac_f64_e32 v[138:139], v[194:195], v[116:117]
	v_mul_f64 v[116:117], v[250:251], v[50:51]
	v_fmac_f64_e32 v[106:107], v[180:181], v[44:45]
	v_mul_f64 v[44:45], v[182:183], v[44:45]
	v_fmac_f64_e32 v[26:27], -0.5, v[40:41]
	v_add_f64 v[40:41], v[126:127], -v[90:91]
	v_add_f64 v[42:43], v[130:131], v[134:135]
	v_fmac_f64_e32 v[142:143], v[200:201], v[104:105]
	v_mul_f64 v[104:105], v[254:255], v[54:55]
	v_fmac_f64_e32 v[116:117], v[248:249], v[48:49]
	v_mul_f64 v[48:49], v[250:251], v[48:49]
	v_fma_f64 v[120:121], v[180:181], v[46:47], -v[44:45]
	v_fma_f64 v[66:67], s[6:7], v[40:41], v[26:27]
	v_fmac_f64_e32 v[26:27], s[24:25], v[40:41]
	v_add_f64 v[40:41], v[28:29], v[130:131]
	v_fmac_f64_e32 v[28:29], -0.5, v[42:43]
	v_add_f64 v[42:43], v[132:133], -v[136:137]
	v_add_f64 v[46:47], v[132:133], v[136:137]
	v_mul_f64 v[112:113], v[192:193], v[58:59]
	v_fmac_f64_e32 v[104:105], v[252:253], v[52:53]
	v_mul_f64 v[52:53], v[254:255], v[52:53]
	v_fma_f64 v[118:119], v[248:249], v[50:51], -v[48:49]
	v_fma_f64 v[44:45], s[24:25], v[42:43], v[28:29]
	v_fmac_f64_e32 v[28:29], s[6:7], v[42:43]
	v_add_f64 v[42:43], v[30:31], v[132:133]
	v_fmac_f64_e32 v[30:31], -0.5, v[46:47]
	v_add_f64 v[48:49], v[130:131], -v[134:135]
	v_add_f64 v[50:51], v[138:139], v[142:143]
	v_fmac_f64_e32 v[148:149], v[208:209], v[96:97]
	v_mul_f64 v[102:103], v[246:247], v[62:63]
	v_fmac_f64_e32 v[112:113], v[190:191], v[56:57]
	v_mul_f64 v[56:57], v[192:193], v[56:57]
	v_fma_f64 v[110:111], v[252:253], v[54:55], -v[52:53]
	v_fma_f64 v[46:47], s[6:7], v[48:49], v[30:31]
	v_fmac_f64_e32 v[30:31], s[24:25], v[48:49]
	v_add_f64 v[48:49], v[36:37], v[138:139]
	v_fmac_f64_e32 v[36:37], -0.5, v[50:51]
	v_add_f64 v[50:51], v[140:141], -v[144:145]
	v_add_f64 v[54:55], v[140:141], v[144:145]
	v_mul_f64 v[94:95], v[238:239], v[70:71]
	v_fmac_f64_e32 v[102:103], v[244:245], v[60:61]
	v_mul_f64 v[60:61], v[246:247], v[60:61]
	v_fma_f64 v[114:115], v[190:191], v[58:59], -v[56:57]
	v_fma_f64 v[52:53], s[24:25], v[50:51], v[36:37]
	v_fmac_f64_e32 v[36:37], s[6:7], v[50:51]
	v_add_f64 v[50:51], v[38:39], v[140:141]
	v_fmac_f64_e32 v[38:39], -0.5, v[54:55]
	v_add_f64 v[56:57], v[138:139], -v[142:143]
	v_add_f64 v[58:59], v[146:147], v[148:149]
	;; [unrolled: 10-line block ×4, first 2 shown]
	v_fmac_f64_e32 v[86:87], v[228:229], v[80:81]
	v_fma_f64 v[160:161], v[224:225], v[74:75], -v[72:73]
	v_fma_f64 v[62:63], s[6:7], v[68:69], v[34:35]
	v_fmac_f64_e32 v[34:35], s[24:25], v[68:69]
	v_add_f64 v[68:69], v[20:21], v[152:153]
	v_fmac_f64_e32 v[20:21], -0.5, v[70:71]
	v_add_f64 v[70:71], v[92:93], -v[84:85]
	v_add_f64 v[74:75], v[92:93], v[84:85]
	v_fma_f64 v[72:73], s[24:25], v[70:71], v[20:21]
	v_fmac_f64_e32 v[20:21], s[6:7], v[70:71]
	v_add_f64 v[70:71], v[22:23], v[92:93]
	v_fmac_f64_e32 v[22:23], -0.5, v[74:75]
	v_add_f64 v[80:81], v[152:153], -v[154:155]
	v_add_f64 v[82:83], v[86:87], v[158:159]
	;; [unrolled: 6-line block ×3, first 2 shown]
	v_add_f64 v[70:71], v[70:71], v[84:85]
	v_fma_f64 v[84:85], s[24:25], v[82:83], v[16:17]
	v_fmac_f64_e32 v[16:17], s[6:7], v[82:83]
	v_add_f64 v[82:83], v[18:19], v[156:157]
	v_fmac_f64_e32 v[18:19], -0.5, v[88:89]
	v_add_f64 v[88:89], v[86:87], -v[158:159]
	v_add_f64 v[90:91], v[94:95], v[98:99]
	v_fma_f64 v[86:87], s[6:7], v[88:89], v[18:19]
	v_fmac_f64_e32 v[18:19], s[24:25], v[88:89]
	v_add_f64 v[88:89], v[12:13], v[94:95]
	v_fmac_f64_e32 v[12:13], -0.5, v[90:91]
	v_add_f64 v[90:91], v[96:97], -v[162:163]
	v_fma_f64 v[92:93], s[24:25], v[90:91], v[12:13]
	v_fmac_f64_e32 v[12:13], s[6:7], v[90:91]
	v_add_f64 v[90:91], v[14:15], v[96:97]
	v_add_f64 v[96:97], v[96:97], v[162:163]
	;; [unrolled: 1-line block ×3, first 2 shown]
	v_fmac_f64_e32 v[14:15], -0.5, v[96:97]
	v_add_f64 v[96:97], v[94:95], -v[98:99]
	v_add_f64 v[98:99], v[102:103], v[112:113]
	v_fma_f64 v[94:95], s[6:7], v[96:97], v[14:15]
	v_fmac_f64_e32 v[14:15], s[24:25], v[96:97]
	v_add_f64 v[96:97], v[8:9], v[102:103]
	v_fmac_f64_e32 v[8:9], -0.5, v[98:99]
	v_add_f64 v[98:99], v[108:109], -v[114:115]
	v_fma_f64 v[100:101], s[24:25], v[98:99], v[8:9]
	v_fmac_f64_e32 v[8:9], s[6:7], v[98:99]
	v_add_f64 v[98:99], v[10:11], v[108:109]
	v_add_f64 v[108:109], v[108:109], v[114:115]
	v_fmac_f64_e32 v[10:11], -0.5, v[108:109]
	v_add_f64 v[108:109], v[102:103], -v[112:113]
	v_fma_f64 v[102:103], s[6:7], v[108:109], v[10:11]
	v_fmac_f64_e32 v[10:11], s[24:25], v[108:109]
	v_add_f64 v[108:109], v[4:5], v[104:105]
	v_add_f64 v[96:97], v[96:97], v[112:113]
	;; [unrolled: 1-line block ×5, first 2 shown]
	v_fmac_f64_e32 v[4:5], -0.5, v[108:109]
	v_add_f64 v[114:115], v[110:111], -v[118:119]
	v_fma_f64 v[108:109], s[24:25], v[114:115], v[4:5]
	v_fmac_f64_e32 v[4:5], s[6:7], v[114:115]
	v_add_f64 v[114:115], v[6:7], v[110:111]
	v_add_f64 v[110:111], v[110:111], v[118:119]
	v_fmac_f64_e32 v[6:7], -0.5, v[110:111]
	v_add_f64 v[104:105], v[104:105], -v[116:117]
	v_fma_f64 v[110:111], s[6:7], v[104:105], v[6:7]
	v_fmac_f64_e32 v[6:7], s[24:25], v[104:105]
	v_add_f64 v[104:105], v[0:1], v[106:107]
	v_add_f64 v[116:117], v[104:105], v[122:123]
	;; [unrolled: 1-line block ×4, first 2 shown]
	v_fmac_f64_e32 v[0:1], -0.5, v[104:105]
	v_add_f64 v[118:119], v[120:121], -v[124:125]
	v_fma_f64 v[104:105], s[24:25], v[118:119], v[0:1]
	v_fmac_f64_e32 v[0:1], s[6:7], v[118:119]
	v_add_f64 v[118:119], v[2:3], v[120:121]
	v_add_f64 v[120:121], v[120:121], v[124:125]
	v_fmac_f64_e32 v[2:3], -0.5, v[120:121]
	v_add_f64 v[120:121], v[106:107], -v[122:123]
	v_fma_f64 v[106:107], s[6:7], v[120:121], v[2:3]
	v_fmac_f64_e32 v[2:3], s[24:25], v[120:121]
	v_add_f64 v[40:41], v[40:41], v[134:135]
	v_add_f64 v[42:43], v[42:43], v[136:137]
	;; [unrolled: 1-line block ×11, first 2 shown]
	ds_write_b128 v185, v[76:79]
	ds_write_b128 v185, v[64:67] offset:800
	ds_write_b128 v185, v[24:27] offset:1600
	;; [unrolled: 1-line block ×29, first 2 shown]
	s_waitcnt lgkmcnt(0)
	; wave barrier
	s_waitcnt lgkmcnt(0)
	ds_read_b128 v[0:3], v185
	v_accvgpr_read_b32 v9, a7
	v_accvgpr_read_b32 v8, a6
	v_accvgpr_read_b32 v7, a5
	v_accvgpr_read_b32 v6, a4
	s_waitcnt lgkmcnt(0)
	v_mul_f64 v[4:5], v[8:9], v[2:3]
	v_fmac_f64_e32 v[4:5], v[6:7], v[0:1]
	s_mov_b32 s2, 0xb4e81b4f
	v_mul_f64 v[0:1], v[8:9], v[0:1]
	s_mov_b32 s3, 0x3f7b4e81
	v_fma_f64 v[0:1], v[6:7], v[2:3], -v[0:1]
	v_mad_u64_u32 v[2:3], s[4:5], s0, v240, 0
	v_mul_f64 v[6:7], v[0:1], s[2:3]
	v_mov_b32_e32 v0, v3
	v_mad_u64_u32 v[0:1], s[4:5], s1, v240, v[0:1]
	v_mov_b32_e32 v3, v0
	v_accvgpr_read_b32 v0, a0
	v_accvgpr_read_b32 v9, a3
	;; [unrolled: 1-line block ×4, first 2 shown]
	v_lshl_add_u64 v[0:1], v[8:9], 4, v[0:1]
	v_mul_f64 v[4:5], v[4:5], s[2:3]
	v_lshl_add_u64 v[10:11], v[2:3], 4, v[0:1]
	global_store_dwordx4 v[10:11], v[4:7], off
	ds_read_b128 v[2:5], v185 offset:240
	v_accvgpr_read_b32 v12, a38
	v_accvgpr_read_b32 v14, a40
	;; [unrolled: 1-line block ×4, first 2 shown]
	s_waitcnt lgkmcnt(0)
	v_mul_f64 v[6:7], v[14:15], v[4:5]
	v_fmac_f64_e32 v[6:7], v[12:13], v[2:3]
	v_mul_f64 v[2:3], v[14:15], v[2:3]
	v_fma_f64 v[2:3], v[12:13], v[4:5], -v[2:3]
	v_mul_f64 v[8:9], v[2:3], s[2:3]
	ds_read_b128 v[2:5], v185 offset:480
	v_mad_u64_u32 v[10:11], s[4:5], s0, v184, v[10:11]
	s_mul_i32 s4, s1, 0xf0
	v_accvgpr_read_b32 v12, a30
	v_mul_f64 v[6:7], v[6:7], s[2:3]
	v_add_u32_e32 v11, s4, v11
	v_accvgpr_read_b32 v14, a32
	v_accvgpr_read_b32 v15, a33
	global_store_dwordx4 v[10:11], v[6:9], off
	v_accvgpr_read_b32 v13, a31
	v_mad_u64_u32 v[10:11], s[6:7], s0, v184, v[10:11]
	s_waitcnt lgkmcnt(0)
	v_mul_f64 v[6:7], v[14:15], v[4:5]
	v_fmac_f64_e32 v[6:7], v[12:13], v[2:3]
	v_mul_f64 v[2:3], v[14:15], v[2:3]
	v_fma_f64 v[2:3], v[12:13], v[4:5], -v[2:3]
	v_mul_f64 v[8:9], v[2:3], s[2:3]
	ds_read_b128 v[2:5], v185 offset:720
	v_accvgpr_read_b32 v12, a34
	v_mul_f64 v[6:7], v[6:7], s[2:3]
	v_add_u32_e32 v11, s4, v11
	v_accvgpr_read_b32 v14, a36
	v_accvgpr_read_b32 v15, a37
	global_store_dwordx4 v[10:11], v[6:9], off
	v_accvgpr_read_b32 v13, a35
	v_mad_u64_u32 v[10:11], s[6:7], s0, v184, v[10:11]
	s_waitcnt lgkmcnt(0)
	v_mul_f64 v[6:7], v[14:15], v[4:5]
	v_fmac_f64_e32 v[6:7], v[12:13], v[2:3]
	v_mul_f64 v[2:3], v[14:15], v[2:3]
	v_fma_f64 v[2:3], v[12:13], v[4:5], -v[2:3]
	v_mul_f64 v[8:9], v[2:3], s[2:3]
	ds_read_b128 v[2:5], v185 offset:960
	;; [unrolled: 15-line block ×5, first 2 shown]
	v_accvgpr_read_b32 v15, a13
	v_mul_f64 v[6:7], v[6:7], s[2:3]
	v_add_u32_e32 v11, s4, v11
	v_accvgpr_read_b32 v14, a12
	global_store_dwordx4 v[10:11], v[6:9], off
	v_accvgpr_read_b32 v13, a11
	v_accvgpr_read_b32 v12, a10
	s_waitcnt lgkmcnt(0)
	v_mul_f64 v[6:7], v[14:15], v[4:5]
	v_fmac_f64_e32 v[6:7], v[12:13], v[2:3]
	v_mul_f64 v[2:3], v[14:15], v[2:3]
	v_fma_f64 v[2:3], v[12:13], v[4:5], -v[2:3]
	v_mul_f64 v[8:9], v[2:3], s[2:3]
	ds_read_b128 v[2:5], v185 offset:1920
	v_mad_u64_u32 v[10:11], s[6:7], s0, v184, v[10:11]
	v_accvgpr_read_b32 v12, a26
	v_mul_f64 v[6:7], v[6:7], s[2:3]
	v_add_u32_e32 v11, s4, v11
	v_accvgpr_read_b32 v14, a28
	v_accvgpr_read_b32 v15, a29
	global_store_dwordx4 v[10:11], v[6:9], off
	v_accvgpr_read_b32 v13, a27
	s_mul_i32 s5, s1, 0x1e0
	s_waitcnt lgkmcnt(0)
	v_mul_f64 v[6:7], v[14:15], v[4:5]
	v_fmac_f64_e32 v[6:7], v[12:13], v[2:3]
	v_mul_f64 v[2:3], v[14:15], v[2:3]
	v_fma_f64 v[2:3], v[12:13], v[4:5], -v[2:3]
	v_accvgpr_read_b32 v5, a8
	v_mul_f64 v[8:9], v[2:3], s[2:3]
	v_mad_u64_u32 v[2:3], s[6:7], s0, v5, 0
	v_mov_b32_e32 v4, v3
	v_mad_u64_u32 v[4:5], s[6:7], s1, v5, v[4:5]
	v_mov_b32_e32 v3, v4
	v_mul_f64 v[6:7], v[6:7], s[2:3]
	v_lshl_add_u64 v[2:3], v[2:3], 4, v[0:1]
	global_store_dwordx4 v[2:3], v[6:9], off
	ds_read_b128 v[2:5], v185 offset:2160
	v_accvgpr_read_b32 v12, a124
	v_accvgpr_read_b32 v14, a126
	;; [unrolled: 1-line block ×4, first 2 shown]
	s_waitcnt lgkmcnt(0)
	v_mul_f64 v[6:7], v[14:15], v[4:5]
	v_fmac_f64_e32 v[6:7], v[12:13], v[2:3]
	v_mul_f64 v[2:3], v[14:15], v[2:3]
	v_fma_f64 v[2:3], v[12:13], v[4:5], -v[2:3]
	v_mov_b32_e32 v14, 0x1e0
	v_mul_f64 v[8:9], v[2:3], s[2:3]
	v_mad_u64_u32 v[2:3], s[6:7], s0, v14, v[10:11]
	v_mul_f64 v[6:7], v[6:7], s[2:3]
	v_add_u32_e32 v3, s5, v3
	global_store_dwordx4 v[2:3], v[6:9], off
	ds_read_b128 v[4:7], v185 offset:80
	v_accvgpr_read_b32 v10, a42
	v_accvgpr_read_b32 v12, a44
	;; [unrolled: 1-line block ×4, first 2 shown]
	s_waitcnt lgkmcnt(0)
	v_mul_f64 v[8:9], v[12:13], v[6:7]
	v_fmac_f64_e32 v[8:9], v[10:11], v[4:5]
	v_mul_f64 v[4:5], v[12:13], v[4:5]
	v_mov_b32_e32 v15, 0xfffff7e0
	v_fma_f64 v[4:5], v[10:11], v[6:7], -v[4:5]
	v_mad_u64_u32 v[12:13], s[6:7], s0, v15, v[2:3]
	v_mul_f64 v[10:11], v[4:5], s[2:3]
	s_mul_i32 s6, s1, 0xfffff7e0
	ds_read_b128 v[2:5], v185 offset:320
	s_sub_i32 s6, s6, s0
	v_mul_f64 v[8:9], v[8:9], s[2:3]
	v_add_u32_e32 v13, s6, v13
	global_store_dwordx4 v[12:13], v[8:11], off
	v_accvgpr_read_b32 v16, a88
	v_accvgpr_read_b32 v18, a90
	;; [unrolled: 1-line block ×6, first 2 shown]
	s_waitcnt lgkmcnt(0)
	v_mul_f64 v[6:7], v[10:11], v[4:5]
	v_fmac_f64_e32 v[6:7], v[8:9], v[2:3]
	v_mul_f64 v[2:3], v[10:11], v[2:3]
	v_fma_f64 v[2:3], v[8:9], v[4:5], -v[2:3]
	v_mul_f64 v[8:9], v[2:3], s[2:3]
	ds_read_b128 v[2:5], v185 offset:560
	v_mad_u64_u32 v[10:11], s[8:9], s0, v184, v[12:13]
	v_mul_f64 v[6:7], v[6:7], s[2:3]
	v_add_u32_e32 v11, s4, v11
	v_accvgpr_read_b32 v19, a91
	global_store_dwordx4 v[10:11], v[6:9], off
	v_accvgpr_read_b32 v17, a89
	v_mad_u64_u32 v[10:11], s[8:9], s0, v184, v[10:11]
	s_waitcnt lgkmcnt(0)
	v_mul_f64 v[6:7], v[18:19], v[4:5]
	v_fmac_f64_e32 v[6:7], v[16:17], v[2:3]
	v_mul_f64 v[2:3], v[18:19], v[2:3]
	v_fma_f64 v[2:3], v[16:17], v[4:5], -v[2:3]
	v_mul_f64 v[8:9], v[2:3], s[2:3]
	ds_read_b128 v[2:5], v185 offset:800
	v_accvgpr_read_b32 v16, a84
	v_mul_f64 v[6:7], v[6:7], s[2:3]
	v_add_u32_e32 v11, s4, v11
	v_accvgpr_read_b32 v18, a86
	v_accvgpr_read_b32 v19, a87
	global_store_dwordx4 v[10:11], v[6:9], off
	v_accvgpr_read_b32 v17, a85
	v_mad_u64_u32 v[10:11], s[8:9], s0, v184, v[10:11]
	s_waitcnt lgkmcnt(0)
	v_mul_f64 v[6:7], v[18:19], v[4:5]
	v_fmac_f64_e32 v[6:7], v[16:17], v[2:3]
	v_mul_f64 v[2:3], v[18:19], v[2:3]
	v_fma_f64 v[2:3], v[16:17], v[4:5], -v[2:3]
	v_mul_f64 v[8:9], v[2:3], s[2:3]
	ds_read_b128 v[2:5], v185 offset:1040
	v_accvgpr_read_b32 v16, a76
	v_mul_f64 v[6:7], v[6:7], s[2:3]
	v_add_u32_e32 v11, s4, v11
	v_accvgpr_read_b32 v18, a78
	;; [unrolled: 15-line block ×3, first 2 shown]
	v_accvgpr_read_b32 v19, a99
	global_store_dwordx4 v[10:11], v[6:9], off
	v_accvgpr_read_b32 v17, a97
	v_mad_u64_u32 v[10:11], s[8:9], s0, v14, v[10:11]
	s_waitcnt lgkmcnt(0)
	v_mul_f64 v[6:7], v[18:19], v[4:5]
	v_fmac_f64_e32 v[6:7], v[16:17], v[2:3]
	v_mul_f64 v[2:3], v[18:19], v[2:3]
	v_fma_f64 v[2:3], v[16:17], v[4:5], -v[2:3]
	v_accvgpr_read_b32 v5, a58
	v_mul_f64 v[8:9], v[2:3], s[2:3]
	v_mad_u64_u32 v[2:3], s[8:9], s0, v5, 0
	v_mov_b32_e32 v4, v3
	v_mad_u64_u32 v[4:5], s[8:9], s1, v5, v[4:5]
	v_mov_b32_e32 v3, v4
	v_mul_f64 v[6:7], v[6:7], s[2:3]
	v_lshl_add_u64 v[2:3], v[2:3], 4, v[0:1]
	global_store_dwordx4 v[2:3], v[6:9], off
	ds_read_b128 v[2:5], v185 offset:1520
	v_accvgpr_read_b32 v16, a80
	v_accvgpr_read_b32 v18, a82
	;; [unrolled: 1-line block ×4, first 2 shown]
	s_waitcnt lgkmcnt(0)
	v_mul_f64 v[6:7], v[18:19], v[4:5]
	v_fmac_f64_e32 v[6:7], v[16:17], v[2:3]
	v_mul_f64 v[2:3], v[18:19], v[2:3]
	v_fma_f64 v[2:3], v[16:17], v[4:5], -v[2:3]
	v_mul_f64 v[8:9], v[2:3], s[2:3]
	ds_read_b128 v[2:5], v185 offset:1760
	v_accvgpr_read_b32 v16, a72
	v_mul_f64 v[6:7], v[6:7], s[2:3]
	v_add_u32_e32 v11, s5, v11
	v_accvgpr_read_b32 v18, a74
	v_accvgpr_read_b32 v19, a75
	global_store_dwordx4 v[10:11], v[6:9], off
	v_accvgpr_read_b32 v17, a73
	v_mad_u64_u32 v[10:11], s[8:9], s0, v184, v[10:11]
	s_waitcnt lgkmcnt(0)
	v_mul_f64 v[6:7], v[18:19], v[4:5]
	v_fmac_f64_e32 v[6:7], v[16:17], v[2:3]
	v_mul_f64 v[2:3], v[18:19], v[2:3]
	v_fma_f64 v[2:3], v[16:17], v[4:5], -v[2:3]
	v_mul_f64 v[8:9], v[2:3], s[2:3]
	ds_read_b128 v[2:5], v185 offset:2000
	v_accvgpr_read_b32 v16, a68
	v_mul_f64 v[6:7], v[6:7], s[2:3]
	v_add_u32_e32 v11, s4, v11
	v_accvgpr_read_b32 v18, a70
	v_accvgpr_read_b32 v19, a71
	global_store_dwordx4 v[10:11], v[6:9], off
	v_accvgpr_read_b32 v17, a69
	v_mad_u64_u32 v[10:11], s[8:9], s0, v184, v[10:11]
	s_waitcnt lgkmcnt(0)
	v_mul_f64 v[6:7], v[18:19], v[4:5]
	v_fmac_f64_e32 v[6:7], v[16:17], v[2:3]
	v_mul_f64 v[2:3], v[18:19], v[2:3]
	v_fma_f64 v[2:3], v[16:17], v[4:5], -v[2:3]
	v_mul_f64 v[8:9], v[2:3], s[2:3]
	ds_read_b128 v[2:5], v185 offset:2240
	v_accvgpr_read_b32 v16, a64
	v_mul_f64 v[6:7], v[6:7], s[2:3]
	v_add_u32_e32 v11, s4, v11
	v_accvgpr_read_b32 v18, a66
	v_accvgpr_read_b32 v19, a67
	global_store_dwordx4 v[10:11], v[6:9], off
	v_accvgpr_read_b32 v17, a65
	v_mov_b32_e32 v14, 0x1e0
	s_waitcnt lgkmcnt(0)
	v_mul_f64 v[6:7], v[18:19], v[4:5]
	v_fmac_f64_e32 v[6:7], v[16:17], v[2:3]
	v_mul_f64 v[2:3], v[18:19], v[2:3]
	v_fma_f64 v[2:3], v[16:17], v[4:5], -v[2:3]
	v_mul_f64 v[8:9], v[2:3], s[2:3]
	v_mad_u64_u32 v[2:3], s[8:9], s0, v184, v[10:11]
	v_mul_f64 v[6:7], v[6:7], s[2:3]
	v_add_u32_e32 v3, s4, v3
	global_store_dwordx4 v[2:3], v[6:9], off
	ds_read_b128 v[4:7], v185 offset:160
	v_accvgpr_read_b32 v10, a108
	v_accvgpr_read_b32 v12, a110
	;; [unrolled: 1-line block ×4, first 2 shown]
	s_waitcnt lgkmcnt(0)
	v_mul_f64 v[8:9], v[12:13], v[6:7]
	v_fmac_f64_e32 v[8:9], v[10:11], v[4:5]
	v_mul_f64 v[4:5], v[12:13], v[4:5]
	v_fma_f64 v[4:5], v[10:11], v[6:7], -v[4:5]
	v_mul_f64 v[10:11], v[4:5], s[2:3]
	v_mad_u64_u32 v[12:13], s[8:9], s0, v15, v[2:3]
	ds_read_b128 v[2:5], v185 offset:400
	v_mul_f64 v[8:9], v[8:9], s[2:3]
	v_add_u32_e32 v13, s6, v13
	global_store_dwordx4 v[12:13], v[8:11], off
	v_accvgpr_read_b32 v16, a120
	v_accvgpr_read_b32 v18, a122
	;; [unrolled: 1-line block ×6, first 2 shown]
	s_waitcnt lgkmcnt(0)
	v_mul_f64 v[6:7], v[10:11], v[4:5]
	v_fmac_f64_e32 v[6:7], v[8:9], v[2:3]
	v_mul_f64 v[2:3], v[10:11], v[2:3]
	v_fma_f64 v[2:3], v[8:9], v[4:5], -v[2:3]
	v_mul_f64 v[8:9], v[2:3], s[2:3]
	ds_read_b128 v[2:5], v185 offset:640
	v_mad_u64_u32 v[10:11], s[6:7], s0, v184, v[12:13]
	v_mul_f64 v[6:7], v[6:7], s[2:3]
	v_add_u32_e32 v11, s4, v11
	v_accvgpr_read_b32 v19, a123
	global_store_dwordx4 v[10:11], v[6:9], off
	v_accvgpr_read_b32 v17, a121
	s_waitcnt lgkmcnt(0)
	v_mul_f64 v[6:7], v[18:19], v[4:5]
	v_fmac_f64_e32 v[6:7], v[16:17], v[2:3]
	v_mul_f64 v[2:3], v[18:19], v[2:3]
	v_fma_f64 v[2:3], v[16:17], v[4:5], -v[2:3]
	v_accvgpr_read_b32 v5, a9
	v_mul_f64 v[8:9], v[2:3], s[2:3]
	v_mad_u64_u32 v[2:3], s[6:7], s0, v5, 0
	v_mov_b32_e32 v4, v3
	v_mad_u64_u32 v[4:5], s[6:7], s1, v5, v[4:5]
	v_mov_b32_e32 v3, v4
	v_mul_f64 v[6:7], v[6:7], s[2:3]
	v_lshl_add_u64 v[0:1], v[2:3], 4, v[0:1]
	global_store_dwordx4 v[0:1], v[6:9], off
	ds_read_b128 v[0:3], v185 offset:880
	s_nop 0
	v_accvgpr_read_b32 v6, a116
	v_accvgpr_read_b32 v8, a118
	;; [unrolled: 1-line block ×4, first 2 shown]
	s_waitcnt lgkmcnt(0)
	v_mul_f64 v[4:5], v[8:9], v[2:3]
	v_fmac_f64_e32 v[4:5], v[6:7], v[0:1]
	v_mul_f64 v[0:1], v[8:9], v[0:1]
	v_fma_f64 v[0:1], v[6:7], v[2:3], -v[0:1]
	v_mul_f64 v[6:7], v[0:1], s[2:3]
	ds_read_b128 v[0:3], v185 offset:1120
	v_mad_u64_u32 v[8:9], s[6:7], s0, v14, v[10:11]
	v_accvgpr_read_b32 v10, a104
	v_mul_f64 v[4:5], v[4:5], s[2:3]
	v_add_u32_e32 v9, s5, v9
	v_accvgpr_read_b32 v12, a106
	v_accvgpr_read_b32 v13, a107
	global_store_dwordx4 v[8:9], v[4:7], off
	v_accvgpr_read_b32 v11, a105
	v_mad_u64_u32 v[8:9], s[6:7], s0, v184, v[8:9]
	s_waitcnt lgkmcnt(0)
	v_mul_f64 v[4:5], v[12:13], v[2:3]
	v_fmac_f64_e32 v[4:5], v[10:11], v[0:1]
	v_mul_f64 v[0:1], v[12:13], v[0:1]
	v_fma_f64 v[0:1], v[10:11], v[2:3], -v[0:1]
	v_mul_f64 v[6:7], v[0:1], s[2:3]
	ds_read_b128 v[0:3], v185 offset:1360
	v_accvgpr_read_b32 v10, a100
	v_mul_f64 v[4:5], v[4:5], s[2:3]
	v_add_u32_e32 v9, s4, v9
	v_accvgpr_read_b32 v12, a102
	v_accvgpr_read_b32 v13, a103
	global_store_dwordx4 v[8:9], v[4:7], off
	v_accvgpr_read_b32 v11, a101
	v_mad_u64_u32 v[8:9], s[6:7], s0, v184, v[8:9]
	s_waitcnt lgkmcnt(0)
	v_mul_f64 v[4:5], v[12:13], v[2:3]
	v_fmac_f64_e32 v[4:5], v[10:11], v[0:1]
	v_mul_f64 v[0:1], v[12:13], v[0:1]
	v_fma_f64 v[0:1], v[10:11], v[2:3], -v[0:1]
	v_mul_f64 v[6:7], v[0:1], s[2:3]
	ds_read_b128 v[0:3], v185 offset:1600
	v_accvgpr_read_b32 v10, a60
	v_mul_f64 v[4:5], v[4:5], s[2:3]
	v_add_u32_e32 v9, s4, v9
	v_accvgpr_read_b32 v12, a62
	v_accvgpr_read_b32 v13, a63
	global_store_dwordx4 v[8:9], v[4:7], off
	v_accvgpr_read_b32 v11, a61
	v_mad_u64_u32 v[8:9], s[6:7], s0, v184, v[8:9]
	s_waitcnt lgkmcnt(0)
	v_mul_f64 v[4:5], v[12:13], v[2:3]
	v_fmac_f64_e32 v[4:5], v[10:11], v[0:1]
	v_mul_f64 v[0:1], v[12:13], v[0:1]
	v_fma_f64 v[0:1], v[10:11], v[2:3], -v[0:1]
	v_mul_f64 v[6:7], v[0:1], s[2:3]
	ds_read_b128 v[0:3], v185 offset:1840
	v_accvgpr_read_b32 v10, a54
	v_mul_f64 v[4:5], v[4:5], s[2:3]
	v_add_u32_e32 v9, s4, v9
	v_accvgpr_read_b32 v12, a56
	v_accvgpr_read_b32 v13, a57
	global_store_dwordx4 v[8:9], v[4:7], off
	v_accvgpr_read_b32 v11, a55
	v_mad_u64_u32 v[8:9], s[6:7], s0, v184, v[8:9]
	s_waitcnt lgkmcnt(0)
	v_mul_f64 v[4:5], v[12:13], v[2:3]
	v_fmac_f64_e32 v[4:5], v[10:11], v[0:1]
	v_mul_f64 v[0:1], v[12:13], v[0:1]
	v_fma_f64 v[0:1], v[10:11], v[2:3], -v[0:1]
	v_mul_f64 v[6:7], v[0:1], s[2:3]
	ds_read_b128 v[0:3], v185 offset:2080
	v_accvgpr_read_b32 v10, a50
	v_mul_f64 v[4:5], v[4:5], s[2:3]
	v_add_u32_e32 v9, s4, v9
	v_accvgpr_read_b32 v12, a52
	v_accvgpr_read_b32 v13, a53
	global_store_dwordx4 v[8:9], v[4:7], off
	v_accvgpr_read_b32 v11, a51
	s_waitcnt lgkmcnt(0)
	v_mul_f64 v[4:5], v[12:13], v[2:3]
	v_fmac_f64_e32 v[4:5], v[10:11], v[0:1]
	v_mul_f64 v[0:1], v[12:13], v[0:1]
	v_fma_f64 v[0:1], v[10:11], v[2:3], -v[0:1]
	v_mul_f64 v[6:7], v[0:1], s[2:3]
	v_mad_u64_u32 v[0:1], s[6:7], s0, v184, v[8:9]
	v_mul_f64 v[4:5], v[4:5], s[2:3]
	v_add_u32_e32 v1, s4, v1
	global_store_dwordx4 v[0:1], v[4:7], off
	ds_read_b128 v[2:5], v185 offset:2320
	v_accvgpr_read_b32 v8, a46
	v_accvgpr_read_b32 v10, a48
	;; [unrolled: 1-line block ×4, first 2 shown]
	s_waitcnt lgkmcnt(0)
	v_mul_f64 v[6:7], v[10:11], v[4:5]
	v_fmac_f64_e32 v[6:7], v[8:9], v[2:3]
	v_mul_f64 v[2:3], v[10:11], v[2:3]
	v_fma_f64 v[2:3], v[8:9], v[4:5], -v[2:3]
	v_mad_u64_u32 v[0:1], s[0:1], s0, v184, v[0:1]
	v_mul_f64 v[6:7], v[6:7], s[2:3]
	v_mul_f64 v[8:9], v[2:3], s[2:3]
	v_add_u32_e32 v1, s4, v1
	global_store_dwordx4 v[0:1], v[6:9], off
.LBB0_2:
	s_endpgm
	.section	.rodata,"a",@progbits
	.p2align	6, 0x0
	.amdhsa_kernel bluestein_single_fwd_len150_dim1_dp_op_CI_CI
		.amdhsa_group_segment_fixed_size 28800
		.amdhsa_private_segment_fixed_size 0
		.amdhsa_kernarg_size 104
		.amdhsa_user_sgpr_count 2
		.amdhsa_user_sgpr_dispatch_ptr 0
		.amdhsa_user_sgpr_queue_ptr 0
		.amdhsa_user_sgpr_kernarg_segment_ptr 1
		.amdhsa_user_sgpr_dispatch_id 0
		.amdhsa_user_sgpr_kernarg_preload_length 0
		.amdhsa_user_sgpr_kernarg_preload_offset 0
		.amdhsa_user_sgpr_private_segment_size 0
		.amdhsa_uses_dynamic_stack 0
		.amdhsa_enable_private_segment 0
		.amdhsa_system_sgpr_workgroup_id_x 1
		.amdhsa_system_sgpr_workgroup_id_y 0
		.amdhsa_system_sgpr_workgroup_id_z 0
		.amdhsa_system_sgpr_workgroup_info 0
		.amdhsa_system_vgpr_workitem_id 0
		.amdhsa_next_free_vgpr 432
		.amdhsa_next_free_sgpr 26
		.amdhsa_accum_offset 256
		.amdhsa_reserve_vcc 1
		.amdhsa_float_round_mode_32 0
		.amdhsa_float_round_mode_16_64 0
		.amdhsa_float_denorm_mode_32 3
		.amdhsa_float_denorm_mode_16_64 3
		.amdhsa_dx10_clamp 1
		.amdhsa_ieee_mode 1
		.amdhsa_fp16_overflow 0
		.amdhsa_tg_split 0
		.amdhsa_exception_fp_ieee_invalid_op 0
		.amdhsa_exception_fp_denorm_src 0
		.amdhsa_exception_fp_ieee_div_zero 0
		.amdhsa_exception_fp_ieee_overflow 0
		.amdhsa_exception_fp_ieee_underflow 0
		.amdhsa_exception_fp_ieee_inexact 0
		.amdhsa_exception_int_div_zero 0
	.end_amdhsa_kernel
	.text
.Lfunc_end0:
	.size	bluestein_single_fwd_len150_dim1_dp_op_CI_CI, .Lfunc_end0-bluestein_single_fwd_len150_dim1_dp_op_CI_CI
                                        ; -- End function
	.section	.AMDGPU.csdata,"",@progbits
; Kernel info:
; codeLenInByte = 27864
; NumSgprs: 32
; NumVgprs: 256
; NumAgprs: 176
; TotalNumVgprs: 432
; ScratchSize: 0
; MemoryBound: 0
; FloatMode: 240
; IeeeMode: 1
; LDSByteSize: 28800 bytes/workgroup (compile time only)
; SGPRBlocks: 3
; VGPRBlocks: 53
; NumSGPRsForWavesPerEU: 32
; NumVGPRsForWavesPerEU: 432
; AccumOffset: 256
; Occupancy: 1
; WaveLimiterHint : 1
; COMPUTE_PGM_RSRC2:SCRATCH_EN: 0
; COMPUTE_PGM_RSRC2:USER_SGPR: 2
; COMPUTE_PGM_RSRC2:TRAP_HANDLER: 0
; COMPUTE_PGM_RSRC2:TGID_X_EN: 1
; COMPUTE_PGM_RSRC2:TGID_Y_EN: 0
; COMPUTE_PGM_RSRC2:TGID_Z_EN: 0
; COMPUTE_PGM_RSRC2:TIDIG_COMP_CNT: 0
; COMPUTE_PGM_RSRC3_GFX90A:ACCUM_OFFSET: 63
; COMPUTE_PGM_RSRC3_GFX90A:TG_SPLIT: 0
	.text
	.p2alignl 6, 3212836864
	.fill 256, 4, 3212836864
	.type	__hip_cuid_68a2125e58ec7a00,@object ; @__hip_cuid_68a2125e58ec7a00
	.section	.bss,"aw",@nobits
	.globl	__hip_cuid_68a2125e58ec7a00
__hip_cuid_68a2125e58ec7a00:
	.byte	0                               ; 0x0
	.size	__hip_cuid_68a2125e58ec7a00, 1

	.ident	"AMD clang version 19.0.0git (https://github.com/RadeonOpenCompute/llvm-project roc-6.4.0 25133 c7fe45cf4b819c5991fe208aaa96edf142730f1d)"
	.section	".note.GNU-stack","",@progbits
	.addrsig
	.addrsig_sym __hip_cuid_68a2125e58ec7a00
	.amdgpu_metadata
---
amdhsa.kernels:
  - .agpr_count:     176
    .args:
      - .actual_access:  read_only
        .address_space:  global
        .offset:         0
        .size:           8
        .value_kind:     global_buffer
      - .actual_access:  read_only
        .address_space:  global
        .offset:         8
        .size:           8
        .value_kind:     global_buffer
      - .actual_access:  read_only
        .address_space:  global
        .offset:         16
        .size:           8
        .value_kind:     global_buffer
      - .actual_access:  read_only
        .address_space:  global
        .offset:         24
        .size:           8
        .value_kind:     global_buffer
      - .actual_access:  read_only
        .address_space:  global
        .offset:         32
        .size:           8
        .value_kind:     global_buffer
      - .offset:         40
        .size:           8
        .value_kind:     by_value
      - .address_space:  global
        .offset:         48
        .size:           8
        .value_kind:     global_buffer
      - .address_space:  global
        .offset:         56
        .size:           8
        .value_kind:     global_buffer
      - .address_space:  global
        .offset:         64
        .size:           8
        .value_kind:     global_buffer
      - .address_space:  global
        .offset:         72
        .size:           8
        .value_kind:     global_buffer
      - .offset:         80
        .size:           4
        .value_kind:     by_value
      - .address_space:  global
        .offset:         88
        .size:           8
        .value_kind:     global_buffer
      - .address_space:  global
        .offset:         96
        .size:           8
        .value_kind:     global_buffer
    .group_segment_fixed_size: 28800
    .kernarg_segment_align: 8
    .kernarg_segment_size: 104
    .language:       OpenCL C
    .language_version:
      - 2
      - 0
    .max_flat_workgroup_size: 60
    .name:           bluestein_single_fwd_len150_dim1_dp_op_CI_CI
    .private_segment_fixed_size: 0
    .sgpr_count:     32
    .sgpr_spill_count: 0
    .symbol:         bluestein_single_fwd_len150_dim1_dp_op_CI_CI.kd
    .uniform_work_group_size: 1
    .uses_dynamic_stack: false
    .vgpr_count:     432
    .vgpr_spill_count: 0
    .wavefront_size: 64
amdhsa.target:   amdgcn-amd-amdhsa--gfx950
amdhsa.version:
  - 1
  - 2
...

	.end_amdgpu_metadata
